;; amdgpu-corpus repo=ROCm/rocFFT kind=compiled arch=gfx950 opt=O3
	.text
	.amdgcn_target "amdgcn-amd-amdhsa--gfx950"
	.amdhsa_code_object_version 6
	.protected	fft_rtc_fwd_len1176_factors_2_2_2_3_7_7_wgs_56_tpt_56_halfLds_half_op_CI_CI_unitstride_sbrr_R2C_dirReg ; -- Begin function fft_rtc_fwd_len1176_factors_2_2_2_3_7_7_wgs_56_tpt_56_halfLds_half_op_CI_CI_unitstride_sbrr_R2C_dirReg
	.globl	fft_rtc_fwd_len1176_factors_2_2_2_3_7_7_wgs_56_tpt_56_halfLds_half_op_CI_CI_unitstride_sbrr_R2C_dirReg
	.p2align	8
	.type	fft_rtc_fwd_len1176_factors_2_2_2_3_7_7_wgs_56_tpt_56_halfLds_half_op_CI_CI_unitstride_sbrr_R2C_dirReg,@function
fft_rtc_fwd_len1176_factors_2_2_2_3_7_7_wgs_56_tpt_56_halfLds_half_op_CI_CI_unitstride_sbrr_R2C_dirReg: ; @fft_rtc_fwd_len1176_factors_2_2_2_3_7_7_wgs_56_tpt_56_halfLds_half_op_CI_CI_unitstride_sbrr_R2C_dirReg
; %bb.0:
	s_load_dwordx4 s[4:7], s[0:1], 0x58
	s_load_dwordx4 s[8:11], s[0:1], 0x0
	;; [unrolled: 1-line block ×3, first 2 shown]
	v_mul_u32_u24_e32 v1, 0x493, v0
	v_add_u32_sdwa v8, s2, v1 dst_sel:DWORD dst_unused:UNUSED_PAD src0_sel:DWORD src1_sel:WORD_1
	v_mov_b32_e32 v4, 0
	s_waitcnt lgkmcnt(0)
	v_cmp_lt_u64_e64 s[2:3], s[10:11], 2
	v_mov_b32_e32 v9, v4
	s_and_b64 vcc, exec, s[2:3]
	v_mov_b64_e32 v[28:29], 0
	s_cbranch_vccnz .LBB0_8
; %bb.1:
	s_load_dwordx2 s[2:3], s[0:1], 0x10
	s_add_u32 s16, s14, 8
	s_addc_u32 s17, s15, 0
	s_add_u32 s18, s12, 8
	s_addc_u32 s19, s13, 0
	s_waitcnt lgkmcnt(0)
	s_add_u32 s20, s2, 8
	v_mov_b64_e32 v[28:29], 0
	s_addc_u32 s21, s3, 0
	s_mov_b64 s[22:23], 1
	v_mov_b64_e32 v[2:3], v[28:29]
.LBB0_2:                                ; =>This Inner Loop Header: Depth=1
	s_load_dwordx2 s[24:25], s[20:21], 0x0
                                        ; implicit-def: $vgpr6_vgpr7
	s_waitcnt lgkmcnt(0)
	v_or_b32_e32 v5, s25, v9
	v_cmp_ne_u64_e32 vcc, 0, v[4:5]
	s_and_saveexec_b64 s[2:3], vcc
	s_xor_b64 s[26:27], exec, s[2:3]
	s_cbranch_execz .LBB0_4
; %bb.3:                                ;   in Loop: Header=BB0_2 Depth=1
	v_cvt_f32_u32_e32 v1, s24
	v_cvt_f32_u32_e32 v5, s25
	s_sub_u32 s2, 0, s24
	s_subb_u32 s3, 0, s25
	v_fmac_f32_e32 v1, 0x4f800000, v5
	v_rcp_f32_e32 v1, v1
	s_nop 0
	v_mul_f32_e32 v1, 0x5f7ffffc, v1
	v_mul_f32_e32 v5, 0x2f800000, v1
	v_trunc_f32_e32 v5, v5
	v_fmac_f32_e32 v1, 0xcf800000, v5
	v_cvt_u32_f32_e32 v5, v5
	v_cvt_u32_f32_e32 v1, v1
	v_mul_lo_u32 v6, s2, v5
	v_mul_hi_u32 v10, s2, v1
	v_mul_lo_u32 v7, s3, v1
	v_add_u32_e32 v10, v10, v6
	v_mul_lo_u32 v12, s2, v1
	v_add_u32_e32 v13, v10, v7
	v_mul_hi_u32 v6, v1, v12
	v_mul_hi_u32 v11, v1, v13
	v_mul_lo_u32 v10, v1, v13
	v_mov_b32_e32 v7, v4
	v_lshl_add_u64 v[6:7], v[6:7], 0, v[10:11]
	v_mul_hi_u32 v11, v5, v12
	v_mul_lo_u32 v12, v5, v12
	v_add_co_u32_e32 v6, vcc, v6, v12
	v_mul_hi_u32 v10, v5, v13
	s_nop 0
	v_addc_co_u32_e32 v6, vcc, v7, v11, vcc
	v_mov_b32_e32 v7, v4
	s_nop 0
	v_addc_co_u32_e32 v11, vcc, 0, v10, vcc
	v_mul_lo_u32 v10, v5, v13
	v_lshl_add_u64 v[6:7], v[6:7], 0, v[10:11]
	v_add_co_u32_e32 v1, vcc, v1, v6
	v_mul_lo_u32 v10, s2, v1
	s_nop 0
	v_addc_co_u32_e32 v5, vcc, v5, v7, vcc
	v_mul_lo_u32 v6, s2, v5
	v_mul_hi_u32 v7, s2, v1
	v_add_u32_e32 v6, v7, v6
	v_mul_lo_u32 v7, s3, v1
	v_add_u32_e32 v12, v6, v7
	v_mul_hi_u32 v14, v5, v10
	v_mul_lo_u32 v15, v5, v10
	v_mul_hi_u32 v7, v1, v12
	v_mul_lo_u32 v6, v1, v12
	v_mul_hi_u32 v10, v1, v10
	v_mov_b32_e32 v11, v4
	v_lshl_add_u64 v[6:7], v[10:11], 0, v[6:7]
	v_add_co_u32_e32 v6, vcc, v6, v15
	v_mul_hi_u32 v13, v5, v12
	s_nop 0
	v_addc_co_u32_e32 v6, vcc, v7, v14, vcc
	v_mul_lo_u32 v10, v5, v12
	s_nop 0
	v_addc_co_u32_e32 v11, vcc, 0, v13, vcc
	v_mov_b32_e32 v7, v4
	v_lshl_add_u64 v[6:7], v[6:7], 0, v[10:11]
	v_add_co_u32_e32 v1, vcc, v1, v6
	v_mul_hi_u32 v10, v8, v1
	s_nop 0
	v_addc_co_u32_e32 v5, vcc, v5, v7, vcc
	v_mad_u64_u32 v[6:7], s[2:3], v8, v5, 0
	v_mov_b32_e32 v11, v4
	v_lshl_add_u64 v[6:7], v[10:11], 0, v[6:7]
	v_mad_u64_u32 v[12:13], s[2:3], v9, v1, 0
	v_add_co_u32_e32 v1, vcc, v6, v12
	v_mad_u64_u32 v[10:11], s[2:3], v9, v5, 0
	s_nop 0
	v_addc_co_u32_e32 v6, vcc, v7, v13, vcc
	v_mov_b32_e32 v7, v4
	s_nop 0
	v_addc_co_u32_e32 v11, vcc, 0, v11, vcc
	v_lshl_add_u64 v[6:7], v[6:7], 0, v[10:11]
	v_mul_lo_u32 v1, s25, v6
	v_mul_lo_u32 v5, s24, v7
	v_mad_u64_u32 v[10:11], s[2:3], s24, v6, 0
	v_add3_u32 v1, v11, v5, v1
	v_sub_u32_e32 v5, v9, v1
	v_mov_b32_e32 v11, s25
	v_sub_co_u32_e32 v14, vcc, v8, v10
	v_lshl_add_u64 v[12:13], v[6:7], 0, 1
	s_nop 0
	v_subb_co_u32_e64 v5, s[2:3], v5, v11, vcc
	v_subrev_co_u32_e64 v10, s[2:3], s24, v14
	v_subb_co_u32_e32 v1, vcc, v9, v1, vcc
	s_nop 0
	v_subbrev_co_u32_e64 v5, s[2:3], 0, v5, s[2:3]
	v_cmp_le_u32_e64 s[2:3], s25, v5
	v_cmp_le_u32_e32 vcc, s25, v1
	s_nop 0
	v_cndmask_b32_e64 v11, 0, -1, s[2:3]
	v_cmp_le_u32_e64 s[2:3], s24, v10
	s_nop 1
	v_cndmask_b32_e64 v10, 0, -1, s[2:3]
	v_cmp_eq_u32_e64 s[2:3], s25, v5
	s_nop 1
	v_cndmask_b32_e64 v5, v11, v10, s[2:3]
	v_lshl_add_u64 v[10:11], v[6:7], 0, 2
	v_cmp_ne_u32_e64 s[2:3], 0, v5
	s_nop 1
	v_cndmask_b32_e64 v5, v13, v11, s[2:3]
	v_cndmask_b32_e64 v11, 0, -1, vcc
	v_cmp_le_u32_e32 vcc, s24, v14
	s_nop 1
	v_cndmask_b32_e64 v13, 0, -1, vcc
	v_cmp_eq_u32_e32 vcc, s25, v1
	s_nop 1
	v_cndmask_b32_e32 v1, v11, v13, vcc
	v_cmp_ne_u32_e32 vcc, 0, v1
	v_cndmask_b32_e64 v1, v12, v10, s[2:3]
	s_nop 0
	v_cndmask_b32_e32 v7, v7, v5, vcc
	v_cndmask_b32_e32 v6, v6, v1, vcc
.LBB0_4:                                ;   in Loop: Header=BB0_2 Depth=1
	s_andn2_saveexec_b64 s[2:3], s[26:27]
	s_cbranch_execz .LBB0_6
; %bb.5:                                ;   in Loop: Header=BB0_2 Depth=1
	v_cvt_f32_u32_e32 v1, s24
	s_sub_i32 s26, 0, s24
	v_rcp_iflag_f32_e32 v1, v1
	s_nop 0
	v_mul_f32_e32 v1, 0x4f7ffffe, v1
	v_cvt_u32_f32_e32 v1, v1
	v_mul_lo_u32 v5, s26, v1
	v_mul_hi_u32 v5, v1, v5
	v_add_u32_e32 v1, v1, v5
	v_mul_hi_u32 v1, v8, v1
	v_mul_lo_u32 v5, v1, s24
	v_sub_u32_e32 v5, v8, v5
	v_add_u32_e32 v6, 1, v1
	v_subrev_u32_e32 v7, s24, v5
	v_cmp_le_u32_e32 vcc, s24, v5
	s_nop 1
	v_cndmask_b32_e32 v5, v5, v7, vcc
	v_cndmask_b32_e32 v1, v1, v6, vcc
	v_add_u32_e32 v6, 1, v1
	v_cmp_le_u32_e32 vcc, s24, v5
	v_mov_b32_e32 v7, v4
	s_nop 0
	v_cndmask_b32_e32 v6, v1, v6, vcc
.LBB0_6:                                ;   in Loop: Header=BB0_2 Depth=1
	s_or_b64 exec, exec, s[2:3]
	v_mad_u64_u32 v[10:11], s[2:3], v6, s24, 0
	s_load_dwordx2 s[2:3], s[18:19], 0x0
	v_mul_lo_u32 v1, v7, s24
	v_mul_lo_u32 v5, v6, s25
	s_load_dwordx2 s[24:25], s[16:17], 0x0
	s_add_u32 s22, s22, 1
	v_add3_u32 v1, v11, v5, v1
	v_sub_co_u32_e32 v5, vcc, v8, v10
	s_addc_u32 s23, s23, 0
	s_nop 0
	v_subb_co_u32_e32 v1, vcc, v9, v1, vcc
	s_add_u32 s16, s16, 8
	s_waitcnt lgkmcnt(0)
	v_mul_lo_u32 v8, s2, v1
	v_mul_lo_u32 v9, s3, v5
	v_mad_u64_u32 v[28:29], s[2:3], s2, v5, v[28:29]
	s_addc_u32 s17, s17, 0
	v_add3_u32 v29, v9, v29, v8
	v_mul_lo_u32 v1, s24, v1
	v_mul_lo_u32 v8, s25, v5
	v_mad_u64_u32 v[2:3], s[2:3], s24, v5, v[2:3]
	s_add_u32 s18, s18, 8
	v_add3_u32 v3, v8, v3, v1
	s_addc_u32 s19, s19, 0
	v_mov_b64_e32 v[8:9], s[10:11]
	s_add_u32 s20, s20, 8
	v_cmp_ge_u64_e32 vcc, s[22:23], v[8:9]
	s_addc_u32 s21, s21, 0
	s_cbranch_vccnz .LBB0_9
; %bb.7:                                ;   in Loop: Header=BB0_2 Depth=1
	v_mov_b64_e32 v[8:9], v[6:7]
	s_branch .LBB0_2
.LBB0_8:
	v_mov_b64_e32 v[2:3], v[28:29]
	v_mov_b64_e32 v[6:7], v[8:9]
.LBB0_9:
	s_load_dwordx2 s[18:19], s[0:1], 0x28
	s_lshl_b64 s[16:17], s[10:11], 3
	s_add_u32 s2, s14, s16
	s_addc_u32 s3, s15, s17
                                        ; implicit-def: $vgpr4
                                        ; implicit-def: $vgpr8
                                        ; implicit-def: $vgpr26
                                        ; implicit-def: $vgpr24
                                        ; implicit-def: $vgpr14
                                        ; implicit-def: $vgpr16
                                        ; implicit-def: $vgpr18
                                        ; implicit-def: $vgpr20
                                        ; implicit-def: $vgpr22
                                        ; implicit-def: $vgpr12
                                        ; implicit-def: $vgpr10
	s_waitcnt lgkmcnt(0)
	v_cmp_gt_u64_e64 s[0:1], s[18:19], v[6:7]
	v_cmp_le_u64_e32 vcc, s[18:19], v[6:7]
	s_and_saveexec_b64 s[10:11], vcc
	s_xor_b64 s[10:11], exec, s[10:11]
	s_cbranch_execz .LBB0_11
; %bb.10:
	s_mov_b32 s14, 0x4924925
	v_mul_hi_u32 v1, v0, s14
	v_mul_u32_u24_e32 v1, 56, v1
	v_sub_u32_e32 v4, v0, v1
	v_add_u32_e32 v8, 56, v4
	v_add_u32_e32 v26, 0x70, v4
	;; [unrolled: 1-line block ×7, first 2 shown]
	v_or_b32_e32 v22, 0x1c0, v4
	v_add_u32_e32 v12, 0x1f8, v4
	v_add_u32_e32 v10, 0x230, v4
                                        ; implicit-def: $vgpr0
                                        ; implicit-def: $vgpr28_vgpr29
.LBB0_11:
	s_andn2_saveexec_b64 s[10:11], s[10:11]
	s_cbranch_execz .LBB0_13
; %bb.12:
	s_add_u32 s12, s12, s16
	s_addc_u32 s13, s13, s17
	s_load_dwordx2 s[12:13], s[12:13], 0x0
	s_mov_b32 s14, 0x4924925
	s_waitcnt lgkmcnt(0)
	v_mul_lo_u32 v1, s13, v6
	v_mul_lo_u32 v4, s12, v7
	v_mad_u64_u32 v[8:9], s[12:13], s12, v6, 0
	v_add3_u32 v9, v9, v4, v1
	v_mul_hi_u32 v1, v0, s14
	v_mul_u32_u24_e32 v1, 56, v1
	v_sub_u32_e32 v4, v0, v1
	v_lshl_add_u64 v[0:1], v[8:9], 2, s[4:5]
	v_lshl_add_u64 v[0:1], v[28:29], 2, v[0:1]
	v_lshlrev_b32_e32 v28, 2, v4
	v_mov_b32_e32 v29, 0
	v_lshl_add_u64 v[0:1], v[0:1], 0, v[28:29]
	v_add_co_u32_e32 v8, vcc, 0x1000, v0
	global_load_dword v5, v[0:1], off
	global_load_dword v11, v[0:1], off offset:224
	global_load_dword v13, v[0:1], off offset:448
	;; [unrolled: 1-line block ×15, first 2 shown]
	v_addc_co_u32_e32 v9, vcc, 0, v1, vcc
	global_load_dword v35, v[0:1], off offset:3584
	global_load_dword v36, v[0:1], off offset:3808
	;; [unrolled: 1-line block ×5, first 2 shown]
	v_add_u32_e32 v8, 56, v4
	v_add_u32_e32 v26, 0x70, v4
	;; [unrolled: 1-line block ×7, first 2 shown]
	v_or_b32_e32 v22, 0x1c0, v4
	v_add_u32_e32 v12, 0x1f8, v4
	v_add_u32_e32 v10, 0x230, v4
	;; [unrolled: 1-line block ×8, first 2 shown]
	s_waitcnt vmcnt(19)
	ds_write2_b32 v0, v5, v11 offset1:56
	s_waitcnt vmcnt(17)
	ds_write2_b32 v0, v13, v15 offset0:112 offset1:168
	s_waitcnt vmcnt(15)
	ds_write2_b32 v1, v17, v19 offset0:96 offset1:152
	;; [unrolled: 2-line block ×9, first 2 shown]
	s_waitcnt vmcnt(0)
	ds_write_b32 v0, v39 offset:4480
.LBB0_13:
	s_or_b64 exec, exec, s[10:11]
	v_lshlrev_b32_e32 v5, 2, v4
	v_add_u32_e32 v11, 0, v5
	v_add_u32_e32 v1, 0x800, v11
	;; [unrolled: 1-line block ×4, first 2 shown]
	s_load_dwordx2 s[4:5], s[2:3], 0x0
	s_waitcnt lgkmcnt(0)
	; wave barrier
	s_waitcnt lgkmcnt(0)
	ds_read2_b32 v[28:29], v1 offset0:48 offset1:76
	ds_read2_b32 v[30:31], v0 offset0:68 offset1:124
	;; [unrolled: 1-line block ×3, first 2 shown]
	v_add_u32_e32 v17, 0xe00, v11
	ds_read2_b32 v[34:35], v17 offset0:84 offset1:140
	v_add_u32_e32 v9, v11, v5
	s_waitcnt lgkmcnt(2)
	v_pk_add_f16 v44, v28, v31 neg_lo:[0,1] neg_hi:[0,1]
	s_waitcnt lgkmcnt(1)
	v_pk_add_f16 v17, v33, v30 neg_lo:[0,1] neg_hi:[0,1]
	ds_read2_b32 v[30:31], v15 offset0:80 offset1:136
	v_pk_fma_f16 v43, v28, 2.0, v44 op_sel_hi:[1,0,1] neg_lo:[0,0,1] neg_hi:[0,0,1]
	s_waitcnt lgkmcnt(1)
	v_pk_add_f16 v15, v32, v35 neg_lo:[0,1] neg_hi:[0,1]
	v_add_u32_e32 v28, 0xc00, v11
	v_pk_fma_f16 v19, v33, 2.0, v17 op_sel_hi:[1,0,1] neg_lo:[0,0,1] neg_hi:[0,0,1]
	s_waitcnt lgkmcnt(0)
	v_pk_add_f16 v23, v31, v34 neg_lo:[0,1] neg_hi:[0,1]
	v_pk_fma_f16 v21, v32, 2.0, v15 op_sel_hi:[1,0,1] neg_lo:[0,0,1] neg_hi:[0,0,1]
	v_pk_fma_f16 v36, v31, 2.0, v23 op_sel_hi:[1,0,1] neg_lo:[0,0,1] neg_hi:[0,0,1]
	v_add_u32_e32 v31, 0x200, v11
	ds_read2_b32 v[34:35], v31 offset0:96 offset1:152
	v_add_u32_e32 v31, 0xa00, v11
	ds_read2_b32 v[32:33], v28 offset0:100 offset1:156
	ds_read2_b32 v[46:47], v31 offset0:116 offset1:172
	v_lshl_add_u32 v42, v8, 3, 0
	v_lshl_add_u32 v41, v26, 3, 0
	;; [unrolled: 1-line block ×3, first 2 shown]
	s_waitcnt lgkmcnt(1)
	v_pk_add_f16 v49, v35, v32 neg_lo:[0,1] neg_hi:[0,1]
	s_waitcnt lgkmcnt(0)
	v_pk_add_f16 v47, v34, v47 neg_lo:[0,1] neg_hi:[0,1]
	v_pk_add_f16 v45, v30, v33 neg_lo:[0,1] neg_hi:[0,1]
	v_pk_fma_f16 v50, v35, 2.0, v49 op_sel_hi:[1,0,1] neg_lo:[0,0,1] neg_hi:[0,0,1]
	v_pk_fma_f16 v51, v34, 2.0, v47 op_sel_hi:[1,0,1] neg_lo:[0,0,1] neg_hi:[0,0,1]
	ds_read2_b32 v[34:35], v11 offset1:56
	v_pk_fma_f16 v48, v30, 2.0, v45 op_sel_hi:[1,0,1] neg_lo:[0,0,1] neg_hi:[0,0,1]
	ds_read2_b32 v[30:31], v11 offset0:112 offset1:168
	ds_read2_b32 v[32:33], v1 offset0:132 offset1:188
	v_lshl_add_u32 v39, v14, 3, 0
	s_waitcnt lgkmcnt(2)
	v_pk_add_f16 v29, v34, v29 neg_lo:[0,1] neg_hi:[0,1]
	v_lshl_add_u32 v13, v16, 3, 0
	v_lshl_add_u32 v38, v18, 3, 0
	;; [unrolled: 1-line block ×5, first 2 shown]
	s_waitcnt lgkmcnt(1)
	v_pk_add_f16 v46, v31, v46 neg_lo:[0,1] neg_hi:[0,1]
	s_waitcnt lgkmcnt(0)
	v_pk_add_f16 v33, v30, v33 neg_lo:[0,1] neg_hi:[0,1]
	v_pk_add_f16 v32, v35, v32 neg_lo:[0,1] neg_hi:[0,1]
	v_pk_fma_f16 v34, v34, 2.0, v29 op_sel_hi:[1,0,1] neg_lo:[0,0,1] neg_hi:[0,0,1]
	v_cmp_gt_u32_e32 vcc, 28, v4
	v_pk_fma_f16 v31, v31, 2.0, v46 op_sel_hi:[1,0,1] neg_lo:[0,0,1] neg_hi:[0,0,1]
	v_pk_fma_f16 v30, v30, 2.0, v33 op_sel_hi:[1,0,1] neg_lo:[0,0,1] neg_hi:[0,0,1]
	;; [unrolled: 1-line block ×3, first 2 shown]
	s_waitcnt lgkmcnt(0)
	; wave barrier
	ds_write2_b32 v9, v34, v29 offset1:1
	ds_write2_b32 v42, v35, v32 offset1:1
	;; [unrolled: 1-line block ×10, first 2 shown]
	s_and_saveexec_b64 s[2:3], vcc
	s_cbranch_execz .LBB0_15
; %bb.14:
	v_lshl_add_u32 v9, v10, 3, 0
	ds_write2_b32 v9, v43, v44 offset1:1
.LBB0_15:
	s_or_b64 exec, exec, s[2:3]
	v_lshlrev_b32_e32 v48, 2, v8
	v_lshlrev_b32_e32 v49, 2, v26
	;; [unrolled: 1-line block ×7, first 2 shown]
	s_waitcnt lgkmcnt(0)
	; wave barrier
	s_waitcnt lgkmcnt(0)
	ds_read2_b32 v[30:31], v1 offset0:76 offset1:132
	v_sub_u32_e32 v29, v42, v48
	v_sub_u32_e32 v32, v41, v49
	;; [unrolled: 1-line block ×7, first 2 shown]
	ds_read_b32 v61, v11
	ds_read_b32 v62, v29
	;; [unrolled: 1-line block ×8, first 2 shown]
	v_lshlrev_b32_e32 v73, 2, v22
	v_lshlrev_b32_e32 v74, 2, v12
	v_sub_u32_e32 v29, v25, v73
	v_sub_u32_e32 v32, v27, v74
	ds_read_b32 v54, v29
	ds_read_b32 v72, v32
	ds_read2_b32 v[34:35], v1 offset0:188 offset1:244
	ds_read2_b32 v[32:33], v28 offset0:44 offset1:100
	;; [unrolled: 1-line block ×4, first 2 shown]
	v_lshlrev_b32_e32 v9, 1, v8
	v_lshlrev_b32_e32 v15, 1, v26
	;; [unrolled: 1-line block ×9, first 2 shown]
	v_lshl_add_u32 v36, v10, 2, 0
	s_and_saveexec_b64 s[2:3], vcc
	s_cbranch_execz .LBB0_17
; %bb.16:
	ds_read_b32 v43, v36
	ds_read_b32 v44, v11 offset:4592
.LBB0_17:
	s_or_b64 exec, exec, s[2:3]
	v_and_b32_e32 v60, 1, v4
	v_lshlrev_b32_e32 v65, 2, v60
	global_load_dword v75, v65, s[8:9]
	s_movk_i32 s3, 0xfc
	v_sub_u32_e32 v71, 0, v48
	v_sub_u32_e32 v69, 0, v50
	s_waitcnt lgkmcnt(0)
	v_lshrrev_b32_e32 v48, 16, v44
	v_and_or_b32 v50, v9, s3, v60
	v_lshl_add_u32 v83, v50, 2, 0
	v_sub_u32_e32 v67, 0, v52
	v_lshlrev_b32_e32 v52, 1, v4
	s_movk_i32 s2, 0x7c
	s_mov_b32 s14, 0xffff
	v_sub_u32_e32 v70, 0, v49
	v_and_or_b32 v49, v52, s2, v60
	v_sub_u32_e32 v68, 0, v51
	v_lshrrev_b32_e32 v51, 16, v43
	s_movk_i32 s10, 0x1fc
	v_lshl_add_u32 v82, v49, 2, 0
	v_sub_u32_e32 v66, 0, v58
	v_sub_u32_e32 v65, 0, v59
	;; [unrolled: 1-line block ×4, first 2 shown]
	v_and_or_b32 v73, v15, s10, v60
	v_and_or_b32 v74, v17, s10, v60
	v_lshl_add_u32 v73, v73, 2, 0
	v_lshl_add_u32 v74, v74, 2, 0
	s_waitcnt lgkmcnt(0)
	; wave barrier
	s_movk_i32 s11, 0x3fc
	v_and_or_b32 v76, v19, s11, v60
	v_lshl_add_u32 v76, v76, 2, 0
	s_movk_i32 s12, 0x2fc
	v_and_or_b32 v77, v21, s12, v60
	v_lshl_add_u32 v77, v77, 2, 0
	v_and_or_b32 v78, v23, s11, v60
	v_lshl_add_u32 v78, v78, 2, 0
	;; [unrolled: 2-line block ×3, first 2 shown]
	s_movk_i32 s13, 0x7fc
	v_and_or_b32 v80, v46, s11, v60
	v_and_or_b32 v81, v47, s13, v60
	v_lshl_add_u32 v80, v80, 2, 0
	v_lshl_add_u32 v81, v81, 2, 0
	s_waitcnt vmcnt(0)
	v_mul_f16_e32 v50, v44, v75
	v_lshrrev_b32_e32 v84, 16, v75
	v_mul_f16_e32 v85, v48, v75
	v_pk_mul_f16 v86, v75, v30 op_sel:[0,1]
	v_pk_mul_f16 v87, v75, v31 op_sel:[0,1]
	;; [unrolled: 1-line block ×4, first 2 shown]
	v_fma_f16 v48, -v48, v84, v50
	v_fma_f16 v44, v44, v84, v85
	v_pk_fma_f16 v84, v75, v30, v86 op_sel:[0,0,1] op_sel_hi:[1,1,0] neg_lo:[0,0,1] neg_hi:[0,0,1]
	v_pk_fma_f16 v30, v75, v30, v86 op_sel:[0,0,1] op_sel_hi:[1,0,0]
	v_pk_fma_f16 v85, v75, v31, v87 op_sel:[0,0,1] op_sel_hi:[1,1,0] neg_lo:[0,0,1] neg_hi:[0,0,1]
	v_pk_fma_f16 v31, v75, v31, v87 op_sel:[0,0,1] op_sel_hi:[1,0,0]
	;; [unrolled: 2-line block ×4, first 2 shown]
	v_bfi_b32 v30, s14, v84, v30
	v_pk_mul_f16 v49, v75, v1 op_sel:[0,1]
	v_bfi_b32 v31, s14, v85, v31
	v_bfi_b32 v34, s14, v86, v34
	;; [unrolled: 1-line block ×3, first 2 shown]
	v_pk_add_f16 v30, v61, v30 neg_lo:[0,1] neg_hi:[0,1]
	v_pk_mul_f16 v90, v75, v32 op_sel:[0,1]
	v_pk_fma_f16 v50, v75, v1, v49 op_sel:[0,0,1] op_sel_hi:[1,1,0] neg_lo:[0,0,1] neg_hi:[0,0,1]
	v_pk_fma_f16 v1, v75, v1, v49 op_sel:[0,0,1] op_sel_hi:[1,0,0]
	v_sub_f16_e32 v49, v51, v44
	v_pk_add_f16 v31, v62, v31 neg_lo:[0,1] neg_hi:[0,1]
	v_pk_add_f16 v34, v63, v34 neg_lo:[0,1] neg_hi:[0,1]
	;; [unrolled: 1-line block ×3, first 2 shown]
	v_pk_fma_f16 v44, v61, 2.0, v30 op_sel_hi:[1,0,1] neg_lo:[0,0,1] neg_hi:[0,0,1]
	v_pk_fma_f16 v61, v62, 2.0, v31 op_sel_hi:[1,0,1] neg_lo:[0,0,1] neg_hi:[0,0,1]
	;; [unrolled: 1-line block ×4, first 2 shown]
	ds_write2_b32 v82, v44, v30 offset1:2
	ds_write2_b32 v83, v61, v31 offset1:2
	;; [unrolled: 1-line block ×4, first 2 shown]
	v_pk_fma_f16 v30, v75, v32, v90 op_sel:[0,0,1] op_sel_hi:[1,1,0] neg_lo:[0,0,1] neg_hi:[0,0,1]
	v_pk_fma_f16 v31, v75, v32, v90 op_sel:[0,0,1] op_sel_hi:[1,0,0]
	v_bfi_b32 v1, s14, v50, v1
	v_bfi_b32 v30, s14, v30, v31
	v_pk_add_f16 v30, v57, v30 neg_lo:[0,1] neg_hi:[0,1]
	v_sub_f16_e32 v48, v43, v48
	v_pk_fma_f16 v31, v57, 2.0, v30 op_sel_hi:[1,0,1] neg_lo:[0,0,1] neg_hi:[0,0,1]
	ds_write2_b32 v76, v31, v30 offset1:2
	v_pk_mul_f16 v30, v75, v33 op_sel:[0,1]
	v_pk_add_f16 v1, v72, v1 neg_lo:[0,1] neg_hi:[0,1]
	v_pk_fma_f16 v31, v75, v33, v30 op_sel:[0,0,1] op_sel_hi:[1,1,0] neg_lo:[0,0,1] neg_hi:[0,0,1]
	v_pk_fma_f16 v30, v75, v33, v30 op_sel:[0,0,1] op_sel_hi:[1,0,0]
	v_fma_f16 v50, v43, 2.0, -v48
	v_bfi_b32 v30, s14, v31, v30
	v_pk_add_f16 v30, v56, v30 neg_lo:[0,1] neg_hi:[0,1]
	v_fma_f16 v51, v51, 2.0, -v49
	v_pk_fma_f16 v31, v56, 2.0, v30 op_sel_hi:[1,0,1] neg_lo:[0,0,1] neg_hi:[0,0,1]
	ds_write2_b32 v77, v31, v30 offset1:2
	v_pk_mul_f16 v30, v75, v28 op_sel:[0,1]
	v_pk_fma_f16 v43, v72, 2.0, v1 op_sel_hi:[1,0,1] neg_lo:[0,0,1] neg_hi:[0,0,1]
	v_pk_fma_f16 v31, v75, v28, v30 op_sel:[0,0,1] op_sel_hi:[1,1,0] neg_lo:[0,0,1] neg_hi:[0,0,1]
	v_pk_fma_f16 v28, v75, v28, v30 op_sel:[0,0,1] op_sel_hi:[1,0,0]
	s_nop 0
	v_bfi_b32 v28, s14, v31, v28
	v_pk_add_f16 v28, v55, v28 neg_lo:[0,1] neg_hi:[0,1]
	s_nop 0
	v_pk_fma_f16 v30, v55, 2.0, v28 op_sel_hi:[1,0,1] neg_lo:[0,0,1] neg_hi:[0,0,1]
	ds_write2_b32 v78, v30, v28 offset1:2
	v_pk_mul_f16 v28, v75, v29 op_sel:[0,1]
	s_nop 0
	v_pk_fma_f16 v30, v75, v29, v28 op_sel:[0,0,1] op_sel_hi:[1,1,0] neg_lo:[0,0,1] neg_hi:[0,0,1]
	v_pk_fma_f16 v28, v75, v29, v28 op_sel:[0,0,1] op_sel_hi:[1,0,0]
	s_nop 0
	v_bfi_b32 v28, s14, v30, v28
	v_pk_add_f16 v28, v53, v28 neg_lo:[0,1] neg_hi:[0,1]
	s_nop 0
	v_pk_fma_f16 v29, v53, 2.0, v28 op_sel_hi:[1,0,1] neg_lo:[0,0,1] neg_hi:[0,0,1]
	ds_write2_b32 v79, v29, v28 offset1:2
	v_pk_mul_f16 v28, v75, v0 op_sel:[0,1]
	v_lshlrev_b32_e32 v53, 1, v10
	v_pk_fma_f16 v29, v75, v0, v28 op_sel:[0,0,1] op_sel_hi:[1,1,0] neg_lo:[0,0,1] neg_hi:[0,0,1]
	v_pk_fma_f16 v0, v75, v0, v28 op_sel:[0,0,1] op_sel_hi:[1,0,0]
	s_nop 0
	v_bfi_b32 v0, s14, v29, v0
	v_pk_add_f16 v0, v54, v0 neg_lo:[0,1] neg_hi:[0,1]
	s_nop 0
	v_pk_fma_f16 v28, v54, 2.0, v0 op_sel_hi:[1,0,1] neg_lo:[0,0,1] neg_hi:[0,0,1]
	ds_write2_b32 v80, v28, v0 offset1:2
	ds_write2_b32 v81, v43, v1 offset1:2
	s_and_saveexec_b64 s[2:3], vcc
	s_cbranch_execz .LBB0_19
; %bb.18:
	s_movk_i32 s10, 0x4fc
	v_and_or_b32 v0, v53, s10, v60
	s_mov_b32 s10, 0x5040100
	v_lshl_add_u32 v0, v0, 2, 0
	v_perm_b32 v1, v51, v50, s10
	v_perm_b32 v28, v49, v48, s10
	ds_write2_b32 v0, v1, v28 offset1:2
.LBB0_19:
	s_or_b64 exec, exec, s[2:3]
	v_add_u32_e32 v0, 0x800, v11
	s_waitcnt lgkmcnt(0)
	; wave barrier
	s_waitcnt lgkmcnt(0)
	ds_read2_b32 v[30:31], v0 offset0:76 offset1:132
	ds_read2_b32 v[32:33], v0 offset0:188 offset1:244
	v_add_u32_e32 v0, 0xc00, v11
	v_add_u32_e32 v44, v42, v71
	;; [unrolled: 1-line block ×5, first 2 shown]
	ds_read2_b32 v[34:35], v0 offset0:44 offset1:100
	v_add_u32_e32 v13, v13, v67
	v_add_u32_e32 v40, v38, v66
	ds_read2_b32 v[0:1], v0 offset0:156 offset1:212
	v_add_u32_e32 v39, v37, v65
	ds_read_b32 v55, v11
	ds_read_b32 v56, v44
	;; [unrolled: 1-line block ×8, first 2 shown]
	v_add_u32_e32 v38, v25, v59
	v_add_u32_e32 v25, 0x1000, v11
	ds_read2_b32 v[28:29], v25 offset0:12 offset1:68
	v_add_u32_e32 v37, v27, v58
	ds_read_b32 v25, v38
	ds_read_b32 v58, v37
	s_and_saveexec_b64 s[2:3], vcc
	s_cbranch_execz .LBB0_21
; %bb.20:
	ds_read_b32 v50, v36
	ds_read_b32 v48, v11 offset:4592
	s_waitcnt lgkmcnt(1)
	v_lshrrev_b32_e32 v51, 16, v50
	s_waitcnt lgkmcnt(0)
	v_lshrrev_b32_e32 v49, 16, v48
.LBB0_21:
	s_or_b64 exec, exec, s[2:3]
	v_and_b32_e32 v27, 3, v4
	v_lshlrev_b32_e32 v59, 2, v27
	global_load_dword v59, v59, s[8:9] offset:8
	s_movk_i32 s2, 0x78
	s_movk_i32 s3, 0xf8
	;; [unrolled: 1-line block ×5, first 2 shown]
	v_and_or_b32 v52, v52, s2, v27
	v_and_or_b32 v9, v9, s3, v27
	;; [unrolled: 1-line block ×7, first 2 shown]
	v_lshl_add_u32 v52, v52, 2, 0
	v_lshl_add_u32 v9, v9, 2, 0
	;; [unrolled: 1-line block ×7, first 2 shown]
	s_waitcnt lgkmcnt(0)
	; wave barrier
	s_waitcnt lgkmcnt(0)
	v_and_or_b32 v45, v45, s11, v27
	v_lshl_add_u32 v45, v45, 2, 0
	s_movk_i32 s13, 0x7f8
	v_and_or_b32 v46, v46, s11, v27
	v_and_or_b32 v47, v47, s13, v27
	v_lshl_add_u32 v46, v46, 2, 0
	v_lshl_add_u32 v47, v47, 2, 0
	s_waitcnt vmcnt(0)
	v_pk_mul_f16 v64, v59, v29 op_sel:[0,1]
	v_pk_mul_f16 v65, v59, v30 op_sel:[0,1]
	;; [unrolled: 1-line block ×8, first 2 shown]
	v_pk_fma_f16 v73, v59, v29, v64 op_sel:[0,0,1] op_sel_hi:[1,1,0] neg_lo:[0,0,1] neg_hi:[0,0,1]
	v_pk_fma_f16 v29, v59, v29, v64 op_sel:[0,0,1] op_sel_hi:[1,0,0]
	v_pk_fma_f16 v64, v59, v30, v65 op_sel:[0,0,1] op_sel_hi:[1,1,0] neg_lo:[0,0,1] neg_hi:[0,0,1]
	v_pk_fma_f16 v30, v59, v30, v65 op_sel:[0,0,1] op_sel_hi:[1,0,0]
	v_pk_fma_f16 v65, v59, v31, v66 op_sel:[0,0,1] op_sel_hi:[1,1,0] neg_lo:[0,0,1] neg_hi:[0,0,1]
	v_pk_fma_f16 v31, v59, v31, v66 op_sel:[0,0,1] op_sel_hi:[1,0,0]
	v_pk_fma_f16 v66, v59, v32, v67 op_sel:[0,0,1] op_sel_hi:[1,1,0] neg_lo:[0,0,1] neg_hi:[0,0,1]
	v_pk_fma_f16 v32, v59, v32, v67 op_sel:[0,0,1] op_sel_hi:[1,0,0]
	v_pk_fma_f16 v67, v59, v33, v68 op_sel:[0,0,1] op_sel_hi:[1,1,0] neg_lo:[0,0,1] neg_hi:[0,0,1]
	v_pk_fma_f16 v33, v59, v33, v68 op_sel:[0,0,1] op_sel_hi:[1,0,0]
	v_pk_fma_f16 v68, v59, v34, v69 op_sel:[0,0,1] op_sel_hi:[1,1,0] neg_lo:[0,0,1] neg_hi:[0,0,1]
	v_pk_fma_f16 v34, v59, v34, v69 op_sel:[0,0,1] op_sel_hi:[1,0,0]
	v_pk_fma_f16 v69, v59, v35, v70 op_sel:[0,0,1] op_sel_hi:[1,1,0] neg_lo:[0,0,1] neg_hi:[0,0,1]
	v_pk_fma_f16 v35, v59, v35, v70 op_sel:[0,0,1] op_sel_hi:[1,0,0]
	v_pk_fma_f16 v70, v59, v0, v71 op_sel:[0,0,1] op_sel_hi:[1,1,0] neg_lo:[0,0,1] neg_hi:[0,0,1]
	v_pk_fma_f16 v0, v59, v0, v71 op_sel:[0,0,1] op_sel_hi:[1,0,0]
	v_bfi_b32 v30, s14, v64, v30
	v_bfi_b32 v31, s14, v65, v31
	;; [unrolled: 1-line block ×7, first 2 shown]
	v_pk_add_f16 v30, v55, v30 neg_lo:[0,1] neg_hi:[0,1]
	v_pk_mul_f16 v72, v59, v1 op_sel:[0,1]
	v_pk_add_f16 v31, v56, v31 neg_lo:[0,1] neg_hi:[0,1]
	v_pk_add_f16 v32, v57, v32 neg_lo:[0,1] neg_hi:[0,1]
	;; [unrolled: 1-line block ×6, first 2 shown]
	v_pk_fma_f16 v55, v55, 2.0, v30 op_sel_hi:[1,0,1] neg_lo:[0,0,1] neg_hi:[0,0,1]
	v_pk_fma_f16 v56, v56, 2.0, v31 op_sel_hi:[1,0,1] neg_lo:[0,0,1] neg_hi:[0,0,1]
	;; [unrolled: 1-line block ×7, first 2 shown]
	ds_write2_b32 v52, v55, v30 offset1:4
	ds_write2_b32 v9, v56, v31 offset1:4
	;; [unrolled: 1-line block ×7, first 2 shown]
	v_pk_fma_f16 v0, v59, v1, v72 op_sel:[0,0,1] op_sel_hi:[1,1,0] neg_lo:[0,0,1] neg_hi:[0,0,1]
	v_pk_fma_f16 v1, v59, v1, v72 op_sel:[0,0,1] op_sel_hi:[1,0,0]
	v_bfi_b32 v29, s14, v73, v29
	v_bfi_b32 v0, s14, v0, v1
	v_pk_add_f16 v0, v54, v0 neg_lo:[0,1] neg_hi:[0,1]
	v_pk_add_f16 v29, v58, v29 neg_lo:[0,1] neg_hi:[0,1]
	v_pk_fma_f16 v1, v54, 2.0, v0 op_sel_hi:[1,0,1] neg_lo:[0,0,1] neg_hi:[0,0,1]
	ds_write2_b32 v45, v1, v0 offset1:4
	v_pk_mul_f16 v0, v59, v28 op_sel:[0,1]
	v_pk_fma_f16 v58, v58, 2.0, v29 op_sel_hi:[1,0,1] neg_lo:[0,0,1] neg_hi:[0,0,1]
	v_pk_fma_f16 v1, v59, v28, v0 op_sel:[0,0,1] op_sel_hi:[1,1,0] neg_lo:[0,0,1] neg_hi:[0,0,1]
	v_pk_fma_f16 v0, v59, v28, v0 op_sel:[0,0,1] op_sel_hi:[1,0,0]
	s_nop 0
	v_bfi_b32 v0, s14, v1, v0
	v_pk_add_f16 v0, v25, v0 neg_lo:[0,1] neg_hi:[0,1]
	s_nop 0
	v_pk_fma_f16 v1, v25, 2.0, v0 op_sel_hi:[1,0,1] neg_lo:[0,0,1] neg_hi:[0,0,1]
	ds_write2_b32 v46, v1, v0 offset1:4
	ds_write2_b32 v47, v58, v29 offset1:4
	s_and_saveexec_b64 s[2:3], vcc
	s_cbranch_execz .LBB0_23
; %bb.22:
	v_mul_f16_sdwa v1, v49, v59 dst_sel:DWORD dst_unused:UNUSED_PAD src0_sel:DWORD src1_sel:WORD_1
	v_mul_f16_sdwa v15, v48, v59 dst_sel:DWORD dst_unused:UNUSED_PAD src0_sel:DWORD src1_sel:WORD_1
	v_fma_f16 v1, v48, v59, -v1
	v_fma_f16 v15, v49, v59, v15
	s_movk_i32 s10, 0x4f8
	v_sub_f16_e32 v1, v50, v1
	v_sub_f16_e32 v15, v51, v15
	v_and_or_b32 v0, v53, s10, v27
	v_fma_f16 v9, v50, 2.0, -v1
	v_fma_f16 v17, v51, 2.0, -v15
	v_lshl_add_u32 v0, v0, 2, 0
	v_pack_b32_f16 v9, v9, v17
	v_pack_b32_f16 v1, v1, v15
	ds_write2_b32 v0, v9, v1 offset1:4
.LBB0_23:
	s_or_b64 exec, exec, s[2:3]
	v_and_b32_e32 v23, 7, v4
	v_lshlrev_b32_e32 v0, 3, v23
	s_waitcnt lgkmcnt(0)
	; wave barrier
	s_waitcnt lgkmcnt(0)
	global_load_dwordx2 v[0:1], v0, s[8:9] offset:24
	ds_read2st64_b32 v[28:29], v11 offset1:7
	v_add_u32_e32 v9, 0xa00, v11
	v_add_u32_e32 v21, 0xc00, v11
	;; [unrolled: 1-line block ×4, first 2 shown]
	ds_read_b32 v25, v44
	ds_read_b32 v27, v43
	;; [unrolled: 1-line block ×5, first 2 shown]
	v_add_u32_e32 v17, 0x1000, v11
	ds_read_b32 v54, v39
	ds_read_b32 v55, v40
	ds_read2_b32 v[30:31], v9 offset0:88 offset1:144
	ds_read2_b32 v[32:33], v21 offset0:72 offset1:128
	;; [unrolled: 1-line block ×6, first 2 shown]
	s_waitcnt lgkmcnt(7)
	v_lshrrev_b32_e32 v63, 16, v54
	s_waitcnt lgkmcnt(5)
	v_lshrrev_b32_e32 v73, 16, v30
	;; [unrolled: 2-line block ×5, first 2 shown]
	v_lshrrev_b32_e32 v64, 16, v29
	v_lshrrev_b32_e32 v65, 16, v34
	;; [unrolled: 1-line block ×10, first 2 shown]
	s_movk_i32 s2, 0x3aee
	s_mov_b32 s3, 0xbaee
	v_lshrrev_b32_e32 v57, 16, v25
	v_lshrrev_b32_e32 v58, 16, v27
	v_lshrrev_b32_e32 v59, 16, v45
	v_lshrrev_b32_e32 v60, 16, v52
	v_lshrrev_b32_e32 v61, 16, v53
	v_lshrrev_b32_e32 v62, 16, v55
	s_waitcnt lgkmcnt(0)
	; wave barrier
	s_mov_b32 s10, 0xbcab
	s_movk_i32 s11, 0x39e0
	s_mov_b32 s13, 0xb9e0
	s_movk_i32 s14, 0x3574
	;; [unrolled: 2-line block ×3, first 2 shown]
	s_waitcnt vmcnt(0)
	v_mul_f16_sdwa v77, v0, v63 dst_sel:DWORD dst_unused:UNUSED_PAD src0_sel:WORD_1 src1_sel:DWORD
	v_mul_f16_sdwa v78, v0, v54 dst_sel:DWORD dst_unused:UNUSED_PAD src0_sel:WORD_1 src1_sel:DWORD
	v_fma_f16 v54, v0, v54, -v77
	v_mul_f16_sdwa v77, v70, v1 dst_sel:DWORD dst_unused:UNUSED_PAD src0_sel:DWORD src1_sel:WORD_1
	v_fma_f16 v63, v0, v63, v78
	v_mul_f16_sdwa v78, v47, v1 dst_sel:DWORD dst_unused:UNUSED_PAD src0_sel:DWORD src1_sel:WORD_1
	v_fma_f16 v47, v47, v1, -v77
	v_mul_f16_sdwa v77, v71, v0 dst_sel:DWORD dst_unused:UNUSED_PAD src0_sel:DWORD src1_sel:WORD_1
	v_fma_f16 v77, v49, v0, -v77
	v_mul_f16_sdwa v49, v49, v0 dst_sel:DWORD dst_unused:UNUSED_PAD src0_sel:DWORD src1_sel:WORD_1
	v_fma_f16 v49, v71, v0, v49
	v_mul_f16_sdwa v71, v72, v1 dst_sel:DWORD dst_unused:UNUSED_PAD src0_sel:DWORD src1_sel:WORD_1
	v_fma_f16 v71, v50, v1, -v71
	v_mul_f16_sdwa v50, v50, v1 dst_sel:DWORD dst_unused:UNUSED_PAD src0_sel:DWORD src1_sel:WORD_1
	v_fma_f16 v50, v72, v1, v50
	v_mul_f16_sdwa v72, v73, v0 dst_sel:DWORD dst_unused:UNUSED_PAD src0_sel:DWORD src1_sel:WORD_1
	v_mul_f16_sdwa v79, v1, v75 dst_sel:DWORD dst_unused:UNUSED_PAD src0_sel:WORD_1 src1_sel:DWORD
	v_mul_f16_sdwa v81, v0, v64 dst_sel:DWORD dst_unused:UNUSED_PAD src0_sel:WORD_1 src1_sel:DWORD
	;; [unrolled: 1-line block ×3, first 2 shown]
	v_mul_f16_sdwa v85, v65, v0 dst_sel:DWORD dst_unused:UNUSED_PAD src0_sel:DWORD src1_sel:WORD_1
	v_mul_f16_sdwa v86, v34, v0 dst_sel:DWORD dst_unused:UNUSED_PAD src0_sel:DWORD src1_sel:WORD_1
	;; [unrolled: 1-line block ×6, first 2 shown]
	v_fma_f16 v72, v30, v0, -v72
	v_mul_f16_sdwa v30, v30, v0 dst_sel:DWORD dst_unused:UNUSED_PAD src0_sel:DWORD src1_sel:WORD_1
	v_mul_f16_sdwa v80, v1, v31 dst_sel:DWORD dst_unused:UNUSED_PAD src0_sel:WORD_1 src1_sel:DWORD
	v_fma_f16 v31, v1, v31, -v79
	v_fma_f16 v29, v0, v29, -v81
	v_fma_f16 v64, v0, v64, v82
	v_fma_f16 v34, v34, v0, -v85
	v_fma_f16 v65, v65, v0, v86
	;; [unrolled: 2-line block ×4, first 2 shown]
	v_fma_f16 v0, v73, v0, v30
	v_mul_f16_sdwa v30, v74, v1 dst_sel:DWORD dst_unused:UNUSED_PAD src0_sel:DWORD src1_sel:WORD_1
	v_mul_f16_sdwa v83, v1, v76 dst_sel:DWORD dst_unused:UNUSED_PAD src0_sel:WORD_1 src1_sel:DWORD
	v_mul_f16_sdwa v84, v1, v32 dst_sel:DWORD dst_unused:UNUSED_PAD src0_sel:WORD_1 src1_sel:DWORD
	v_mul_f16_sdwa v87, v66, v1 dst_sel:DWORD dst_unused:UNUSED_PAD src0_sel:DWORD src1_sel:WORD_1
	v_mul_f16_sdwa v88, v33, v1 dst_sel:DWORD dst_unused:UNUSED_PAD src0_sel:DWORD src1_sel:WORD_1
	;; [unrolled: 1-line block ×4, first 2 shown]
	v_fma_f16 v75, v1, v75, v80
	v_fma_f16 v30, v51, v1, -v30
	v_mul_f16_sdwa v51, v51, v1 dst_sel:DWORD dst_unused:UNUSED_PAD src0_sel:DWORD src1_sel:WORD_1
	v_add_f16_e32 v73, v54, v31
	v_fma_f16 v32, v1, v32, -v83
	v_fma_f16 v76, v1, v76, v84
	v_fma_f16 v33, v33, v1, -v87
	v_fma_f16 v66, v66, v1, v88
	;; [unrolled: 2-line block ×3, first 2 shown]
	v_fma_f16 v70, v70, v1, v78
	v_fma_f16 v1, v74, v1, v51
	v_add_f16_e32 v51, v28, v54
	v_fma_f16 v28, v73, -0.5, v28
	v_sub_f16_e32 v73, v63, v75
	v_fma_f16 v74, v73, s2, v28
	v_fma_f16 v28, v73, s3, v28
	v_add_f16_e32 v73, v56, v63
	v_add_f16_e32 v63, v63, v75
	v_add_f16_e32 v51, v51, v31
	v_fma_f16 v56, v63, -0.5, v56
	v_sub_f16_e32 v31, v54, v31
	v_add_f16_e32 v63, v29, v32
	v_fma_f16 v54, v31, s3, v56
	v_fma_f16 v31, v31, s2, v56
	v_add_f16_e32 v56, v25, v29
	v_fma_f16 v25, v63, -0.5, v25
	v_sub_f16_e32 v63, v64, v76
	v_add_f16_e32 v73, v73, v75
	v_fma_f16 v75, v63, s2, v25
	v_fma_f16 v25, v63, s3, v25
	v_add_f16_e32 v63, v57, v64
	v_add_f16_e32 v64, v64, v76
	v_fma_f16 v57, v64, -0.5, v57
	v_sub_f16_e32 v29, v29, v32
	v_add_f16_e32 v64, v34, v33
	v_add_f16_e32 v56, v56, v32
	v_fma_f16 v32, v29, s3, v57
	v_fma_f16 v29, v29, s2, v57
	v_add_f16_e32 v57, v27, v34
	v_fma_f16 v27, v64, -0.5, v27
	v_sub_f16_e32 v64, v65, v66
	v_add_f16_e32 v63, v63, v76
	v_fma_f16 v76, v64, s2, v27
	v_fma_f16 v27, v64, s3, v27
	v_add_f16_e32 v64, v58, v65
	v_add_f16_e32 v65, v65, v66
	;; [unrolled: 1-line block ×3, first 2 shown]
	v_fma_f16 v58, v65, -0.5, v58
	v_sub_f16_e32 v33, v34, v33
	v_add_f16_e32 v65, v35, v46
	v_fma_f16 v34, v33, s3, v58
	v_fma_f16 v33, v33, s2, v58
	v_add_f16_e32 v58, v45, v35
	v_fma_f16 v45, v65, -0.5, v45
	v_sub_f16_e32 v65, v67, v68
	v_add_f16_e32 v64, v64, v66
	v_fma_f16 v66, v65, s2, v45
	v_fma_f16 v45, v65, s3, v45
	v_add_f16_e32 v65, v59, v67
	v_add_f16_e32 v67, v67, v68
	v_fma_f16 v59, v67, -0.5, v59
	v_sub_f16_e32 v35, v35, v46
	v_add_f16_e32 v67, v48, v47
	v_add_f16_e32 v58, v58, v46
	v_fma_f16 v46, v35, s3, v59
	v_fma_f16 v35, v35, s2, v59
	v_add_f16_e32 v59, v52, v48
	v_fma_f16 v52, v67, -0.5, v52
	v_sub_f16_e32 v67, v69, v70
	v_add_f16_e32 v65, v65, v68
	v_fma_f16 v68, v67, s2, v52
	v_fma_f16 v52, v67, s3, v52
	v_add_f16_e32 v67, v60, v69
	v_add_f16_e32 v69, v69, v70
	;; [unrolled: 1-line block ×3, first 2 shown]
	v_fma_f16 v60, v69, -0.5, v60
	v_sub_f16_e32 v47, v48, v47
	v_add_f16_e32 v69, v77, v71
	v_fma_f16 v48, v47, s3, v60
	v_fma_f16 v47, v47, s2, v60
	v_add_f16_e32 v60, v53, v77
	v_fma_f16 v53, v69, -0.5, v53
	v_sub_f16_e32 v69, v49, v50
	v_add_f16_e32 v67, v67, v70
	v_fma_f16 v70, v69, s2, v53
	v_fma_f16 v53, v69, s3, v53
	v_add_f16_e32 v69, v61, v49
	v_add_f16_e32 v49, v49, v50
	;; [unrolled: 1-line block ×4, first 2 shown]
	v_fma_f16 v49, v49, -0.5, v61
	v_sub_f16_e32 v50, v77, v71
	v_add_f16_e32 v71, v72, v30
	v_fma_f16 v61, v50, s3, v49
	v_fma_f16 v49, v50, s2, v49
	v_add_f16_e32 v50, v55, v72
	v_fma_f16 v55, v71, -0.5, v55
	v_sub_f16_e32 v71, v0, v1
	v_fma_f16 v77, v71, s2, v55
	v_fma_f16 v55, v71, s3, v55
	v_add_f16_e32 v71, v62, v0
	v_add_f16_e32 v0, v0, v1
	;; [unrolled: 1-line block ×3, first 2 shown]
	v_fma_f16 v0, v0, -0.5, v62
	v_sub_f16_e32 v1, v72, v30
	v_add_f16_e32 v50, v50, v30
	v_fma_f16 v30, v1, s3, v0
	v_fma_f16 v0, v1, s2, v0
	v_lshrrev_b32_e32 v1, 3, v4
	v_mul_u32_u24_e32 v1, 24, v1
	v_or_b32_e32 v1, v1, v23
	v_lshl_add_u32 v1, v1, 2, 0
	v_pack_b32_f16 v51, v51, v73
	v_pack_b32_f16 v54, v74, v54
	;; [unrolled: 1-line block ×3, first 2 shown]
	ds_write2_b32 v1, v51, v54 offset1:8
	ds_write_b32 v1, v28 offset:64
	v_lshrrev_b32_e32 v1, 3, v8
	v_mul_lo_u32 v1, v1, 24
	v_or_b32_e32 v1, v1, v23
	v_lshl_add_u32 v1, v1, 2, 0
	v_pack_b32_f16 v28, v56, v63
	v_pack_b32_f16 v31, v75, v32
	;; [unrolled: 1-line block ×3, first 2 shown]
	ds_write2_b32 v1, v28, v31 offset1:8
	ds_write_b32 v1, v25 offset:64
	v_lshrrev_b32_e32 v1, 3, v26
	v_mul_lo_u32 v1, v1, 24
	v_or_b32_e32 v1, v1, v23
	v_lshl_add_u32 v1, v1, 2, 0
	v_pack_b32_f16 v25, v57, v64
	v_pack_b32_f16 v28, v76, v34
	ds_write2_b32 v1, v25, v28 offset1:8
	v_pack_b32_f16 v25, v27, v33
	ds_write_b32 v1, v25 offset:64
	v_lshrrev_b32_e32 v1, 3, v24
	v_mul_lo_u32 v1, v1, 24
	v_or_b32_e32 v1, v1, v23
	v_lshl_add_u32 v1, v1, 2, 0
	v_pack_b32_f16 v25, v58, v65
	v_pack_b32_f16 v27, v66, v46
	ds_write2_b32 v1, v25, v27 offset1:8
	v_pack_b32_f16 v25, v45, v35
	;; [unrolled: 9-line block ×4, first 2 shown]
	ds_write_b32 v1, v25 offset:64
	v_lshrrev_b32_e32 v1, 3, v18
	v_mul_lo_u32 v1, v1, 24
	v_or_b32_e32 v1, v1, v23
	v_lshl_add_u32 v1, v1, 2, 0
	v_pack_b32_f16 v0, v55, v0
	s_movk_i32 s2, 0xab
	v_pack_b32_f16 v23, v50, v71
	v_pack_b32_f16 v25, v77, v30
	ds_write_b32 v1, v0 offset:64
	v_mul_lo_u16_sdwa v0, v4, s2 dst_sel:DWORD dst_unused:UNUSED_PAD src0_sel:BYTE_0 src1_sel:DWORD
	ds_write2_b32 v1, v23, v25 offset1:8
	v_lshrrev_b16_e32 v25, 12, v0
	v_mul_lo_u16_e32 v0, 24, v25
	v_sub_u16_e32 v27, v4, v0
	v_mov_b32_e32 v23, 6
	v_mul_u32_u24_sdwa v0, v27, v23 dst_sel:DWORD dst_unused:UNUSED_PAD src0_sel:BYTE_0 src1_sel:DWORD
	v_lshlrev_b32_e32 v45, 2, v0
	s_waitcnt lgkmcnt(0)
	; wave barrier
	s_waitcnt lgkmcnt(0)
	global_load_dwordx4 v[28:31], v45, s[8:9] offset:88
	v_mul_lo_u16_sdwa v0, v8, s2 dst_sel:DWORD dst_unused:UNUSED_PAD src0_sel:BYTE_0 src1_sel:DWORD
	v_lshrrev_b16_e32 v70, 12, v0
	v_mul_lo_u16_e32 v0, 24, v70
	v_sub_u16_e32 v71, v8, v0
	v_mul_u32_u24_sdwa v0, v71, v23 dst_sel:DWORD dst_unused:UNUSED_PAD src0_sel:BYTE_0 src1_sel:DWORD
	v_lshlrev_b32_e32 v46, 2, v0
	global_load_dwordx4 v[32:35], v46, s[8:9] offset:88
	global_load_dwordx2 v[0:1], v45, s[8:9] offset:104
	global_load_dwordx2 v[50:51], v46, s[8:9] offset:104
	v_mul_lo_u16_sdwa v45, v26, s2 dst_sel:DWORD dst_unused:UNUSED_PAD src0_sel:BYTE_0 src1_sel:DWORD
	v_lshrrev_b16_e32 v45, 12, v45
	v_mul_lo_u16_e32 v46, 24, v45
	v_sub_u16_e32 v72, v26, v46
	v_mul_u32_u24_sdwa v23, v72, v23 dst_sel:DWORD dst_unused:UNUSED_PAD src0_sel:BYTE_0 src1_sel:DWORD
	v_lshlrev_b32_e32 v68, 2, v23
	global_load_dwordx4 v[46:49], v68, s[8:9] offset:88
	v_add_u32_e32 v23, 0x400, v11
	ds_read2_b32 v[52:53], v21 offset0:72 offset1:128
	ds_read2_b32 v[54:55], v21 offset0:184 offset1:240
	ds_read2_b32 v[56:57], v11 offset1:224
	ds_read_b32 v73, v37
	ds_read2_b32 v[58:59], v19 offset0:104 offset1:160
	ds_read2_b32 v[60:61], v23 offset0:24 offset1:136
	ds_read_b32 v76, v44
	ds_read2_b32 v[62:63], v15 offset0:64 offset1:176
	global_load_dwordx2 v[68:69], v68, s[8:9] offset:104
	ds_read2_b32 v[64:65], v9 offset0:88 offset1:144
	ds_read2_b32 v[66:67], v17 offset0:40 offset1:96
	ds_read_b32 v83, v40
	ds_read_b32 v84, v42
	;; [unrolled: 1-line block ×3, first 2 shown]
	s_waitcnt lgkmcnt(10)
	v_lshrrev_b32_e32 v77, 16, v57
	v_lshrrev_b32_e32 v74, 16, v52
	;; [unrolled: 1-line block ×3, first 2 shown]
	s_waitcnt lgkmcnt(1)
	v_lshrrev_b32_e32 v90, 16, v84
	v_lshrrev_b32_e32 v81, 16, v53
	;; [unrolled: 1-line block ×10, first 2 shown]
	s_movk_i32 s3, 0x2b26
	s_movk_i32 s2, 0x3b00
	v_mul_u32_u24_e32 v25, 0x2a0, v25
	s_waitcnt lgkmcnt(0)
	; wave barrier
	s_waitcnt vmcnt(5) lgkmcnt(0)
	v_mul_f16_sdwa v91, v28, v90 dst_sel:DWORD dst_unused:UNUSED_PAD src0_sel:WORD_1 src1_sel:DWORD
	v_fma_f16 v91, v28, v84, -v91
	v_mul_f16_sdwa v84, v28, v84 dst_sel:DWORD dst_unused:UNUSED_PAD src0_sel:WORD_1 src1_sel:DWORD
	v_fma_f16 v28, v28, v90, v84
	v_lshrrev_b32_e32 v84, 16, v83
	v_mul_f16_sdwa v90, v29, v84 dst_sel:DWORD dst_unused:UNUSED_PAD src0_sel:WORD_1 src1_sel:DWORD
	v_fma_f16 v90, v29, v83, -v90
	v_mul_f16_sdwa v83, v29, v83 dst_sel:DWORD dst_unused:UNUSED_PAD src0_sel:WORD_1 src1_sel:DWORD
	v_fma_f16 v29, v29, v84, v83
	v_lshrrev_b32_e32 v83, 16, v73
	;; [unrolled: 5-line block ×3, first 2 shown]
	v_mul_f16_sdwa v83, v31, v59 dst_sel:DWORD dst_unused:UNUSED_PAD src0_sel:WORD_1 src1_sel:DWORD
	v_fma_f16 v83, v31, v73, v83
	v_mul_f16_sdwa v73, v31, v73 dst_sel:DWORD dst_unused:UNUSED_PAD src0_sel:WORD_1 src1_sel:DWORD
	v_fma_f16 v31, v31, v59, -v73
	s_waitcnt vmcnt(4)
	v_mul_f16_sdwa v59, v77, v32 dst_sel:DWORD dst_unused:UNUSED_PAD src0_sel:DWORD src1_sel:WORD_1
	v_fma_f16 v59, v57, v32, -v59
	v_mul_f16_sdwa v57, v57, v32 dst_sel:DWORD dst_unused:UNUSED_PAD src0_sel:DWORD src1_sel:WORD_1
	v_fma_f16 v32, v77, v32, v57
	s_waitcnt vmcnt(3)
	v_mul_f16_sdwa v77, v74, v0 dst_sel:DWORD dst_unused:UNUSED_PAD src0_sel:DWORD src1_sel:WORD_1
	v_fma_f16 v77, v52, v0, -v77
	v_mul_f16_sdwa v52, v52, v0 dst_sel:DWORD dst_unused:UNUSED_PAD src0_sel:DWORD src1_sel:WORD_1
	v_fma_f16 v0, v74, v0, v52
	v_mul_f16_sdwa v52, v55, v1 dst_sel:DWORD dst_unused:UNUSED_PAD src0_sel:DWORD src1_sel:WORD_1
	v_mul_f16_sdwa v74, v75, v1 dst_sel:DWORD dst_unused:UNUSED_PAD src0_sel:DWORD src1_sel:WORD_1
	v_fma_f16 v52, v75, v1, v52
	v_fma_f16 v1, v55, v1, -v74
	s_waitcnt vmcnt(2)
	v_mul_f16_sdwa v55, v81, v50 dst_sel:DWORD dst_unused:UNUSED_PAD src0_sel:DWORD src1_sel:WORD_1
	v_fma_f16 v55, v53, v50, -v55
	v_mul_f16_sdwa v53, v53, v50 dst_sel:DWORD dst_unused:UNUSED_PAD src0_sel:DWORD src1_sel:WORD_1
	v_fma_f16 v50, v81, v50, v53
	v_mul_f16_sdwa v53, v82, v51 dst_sel:DWORD dst_unused:UNUSED_PAD src0_sel:DWORD src1_sel:WORD_1
	v_fma_f16 v53, v66, v51, -v53
	v_mul_f16_sdwa v66, v66, v51 dst_sel:DWORD dst_unused:UNUSED_PAD src0_sel:DWORD src1_sel:WORD_1
	v_fma_f16 v51, v82, v51, v66
	s_waitcnt vmcnt(1)
	v_mul_f16_sdwa v66, v86, v46 dst_sel:DWORD dst_unused:UNUSED_PAD src0_sel:DWORD src1_sel:WORD_1
	v_fma_f16 v66, v60, v46, -v66
	v_mul_f16_sdwa v60, v60, v46 dst_sel:DWORD dst_unused:UNUSED_PAD src0_sel:DWORD src1_sel:WORD_1
	v_mul_f16_sdwa v57, v78, v33 dst_sel:DWORD dst_unused:UNUSED_PAD src0_sel:DWORD src1_sel:WORD_1
	v_fma_f16 v46, v86, v46, v60
	v_mul_f16_sdwa v60, v87, v47 dst_sel:DWORD dst_unused:UNUSED_PAD src0_sel:DWORD src1_sel:WORD_1
	v_fma_f16 v57, v61, v33, -v57
	v_mul_f16_sdwa v61, v61, v33 dst_sel:DWORD dst_unused:UNUSED_PAD src0_sel:DWORD src1_sel:WORD_1
	v_fma_f16 v60, v62, v47, -v60
	v_mul_f16_sdwa v62, v62, v47 dst_sel:DWORD dst_unused:UNUSED_PAD src0_sel:DWORD src1_sel:WORD_1
	v_fma_f16 v33, v78, v33, v61
	v_mul_f16_sdwa v61, v79, v34 dst_sel:DWORD dst_unused:UNUSED_PAD src0_sel:DWORD src1_sel:WORD_1
	v_fma_f16 v47, v87, v47, v62
	v_mul_f16_sdwa v62, v88, v48 dst_sel:DWORD dst_unused:UNUSED_PAD src0_sel:DWORD src1_sel:WORD_1
	v_fma_f16 v61, v63, v34, -v61
	v_mul_f16_sdwa v63, v63, v34 dst_sel:DWORD dst_unused:UNUSED_PAD src0_sel:DWORD src1_sel:WORD_1
	v_fma_f16 v62, v58, v48, -v62
	v_mul_f16_sdwa v58, v58, v48 dst_sel:DWORD dst_unused:UNUSED_PAD src0_sel:DWORD src1_sel:WORD_1
	v_fma_f16 v34, v79, v34, v63
	v_mul_f16_sdwa v63, v64, v35 dst_sel:DWORD dst_unused:UNUSED_PAD src0_sel:DWORD src1_sel:WORD_1
	v_mul_f16_sdwa v73, v80, v35 dst_sel:DWORD dst_unused:UNUSED_PAD src0_sel:DWORD src1_sel:WORD_1
	v_fma_f16 v48, v88, v48, v58
	v_mul_f16_sdwa v58, v89, v49 dst_sel:DWORD dst_unused:UNUSED_PAD src0_sel:DWORD src1_sel:WORD_1
	v_fma_f16 v63, v80, v35, v63
	v_fma_f16 v35, v64, v35, -v73
	v_lshrrev_b32_e32 v64, 16, v54
	v_fma_f16 v58, v65, v49, -v58
	v_mul_f16_sdwa v65, v65, v49 dst_sel:DWORD dst_unused:UNUSED_PAD src0_sel:DWORD src1_sel:WORD_1
	v_fma_f16 v49, v89, v49, v65
	s_waitcnt vmcnt(0)
	v_mul_f16_sdwa v65, v64, v68 dst_sel:DWORD dst_unused:UNUSED_PAD src0_sel:DWORD src1_sel:WORD_1
	v_lshrrev_b32_e32 v73, 16, v67
	v_fma_f16 v65, v54, v68, -v65
	v_mul_f16_sdwa v54, v54, v68 dst_sel:DWORD dst_unused:UNUSED_PAD src0_sel:DWORD src1_sel:WORD_1
	v_fma_f16 v54, v64, v68, v54
	v_mul_f16_sdwa v64, v73, v69 dst_sel:DWORD dst_unused:UNUSED_PAD src0_sel:DWORD src1_sel:WORD_1
	v_fma_f16 v64, v67, v69, -v64
	v_mul_f16_sdwa v67, v67, v69 dst_sel:DWORD dst_unused:UNUSED_PAD src0_sel:DWORD src1_sel:WORD_1
	v_fma_f16 v67, v73, v69, v67
	v_add_f16_e32 v68, v91, v1
	v_add_f16_e32 v69, v28, v52
	v_sub_f16_e32 v28, v28, v52
	v_add_f16_e32 v52, v90, v77
	v_add_f16_e32 v73, v29, v0
	v_sub_f16_e32 v1, v91, v1
	v_sub_f16_e32 v74, v90, v77
	;; [unrolled: 1-line block ×3, first 2 shown]
	v_add_f16_e32 v29, v84, v31
	v_add_f16_e32 v75, v30, v83
	v_sub_f16_e32 v31, v31, v84
	v_sub_f16_e32 v30, v83, v30
	v_add_f16_e32 v77, v52, v68
	v_add_f16_e32 v78, v73, v69
	v_sub_f16_e32 v79, v52, v68
	v_sub_f16_e32 v80, v73, v69
	;; [unrolled: 1-line block ×6, first 2 shown]
	v_add_f16_e32 v81, v31, v74
	v_add_f16_e32 v82, v30, v0
	v_sub_f16_e32 v83, v31, v74
	v_sub_f16_e32 v84, v30, v0
	;; [unrolled: 1-line block ×4, first 2 shown]
	v_add_f16_e32 v29, v29, v77
	v_add_f16_e32 v75, v75, v78
	v_sub_f16_e32 v31, v1, v31
	v_sub_f16_e32 v30, v28, v30
	v_add_f16_e32 v1, v81, v1
	v_add_f16_e32 v28, v82, v28
	;; [unrolled: 1-line block ×3, first 2 shown]
	v_add_f16_sdwa v56, v75, v56 dst_sel:DWORD dst_unused:UNUSED_PAD src0_sel:DWORD src1_sel:WORD_1
	v_mul_f16_e32 v68, 0x3a52, v68
	v_mul_f16_e32 v69, 0x3a52, v69
	;; [unrolled: 1-line block ×8, first 2 shown]
	v_fma_f16 v29, v29, s10, v77
	v_fma_f16 v75, v75, s10, v56
	v_fma_f16 v52, v52, s3, v68
	v_fma_f16 v73, v73, s3, v69
	v_fma_f16 v78, v79, s11, -v78
	v_fma_f16 v81, v80, s11, -v81
	;; [unrolled: 1-line block ×4, first 2 shown]
	v_fma_f16 v79, v31, s14, v82
	v_fma_f16 v80, v30, s14, v83
	v_fma_f16 v74, v74, s2, -v82
	v_fma_f16 v0, v0, s2, -v83
	;; [unrolled: 1-line block ×4, first 2 shown]
	v_add_f16_e32 v52, v52, v29
	v_add_f16_e32 v73, v73, v75
	;; [unrolled: 1-line block ×6, first 2 shown]
	v_fma_f16 v69, v1, s12, v79
	v_fma_f16 v75, v28, s12, v80
	;; [unrolled: 1-line block ×6, first 2 shown]
	v_add_f16_e32 v30, v75, v52
	v_sub_f16_e32 v31, v73, v69
	v_add_f16_e32 v79, v28, v29
	v_sub_f16_e32 v80, v68, v1
	v_sub_f16_e32 v28, v29, v28
	v_add_f16_e32 v1, v1, v68
	v_sub_f16_e32 v29, v52, v75
	v_add_f16_e32 v52, v69, v73
	v_add_f16_e32 v68, v59, v53
	;; [unrolled: 1-line block ×3, first 2 shown]
	v_sub_f16_e32 v53, v59, v53
	v_sub_f16_e32 v32, v32, v51
	v_add_f16_e32 v51, v57, v55
	v_add_f16_e32 v59, v33, v50
	v_sub_f16_e32 v55, v57, v55
	v_sub_f16_e32 v33, v33, v50
	v_add_f16_e32 v50, v61, v35
	v_add_f16_e32 v57, v34, v63
	;; [unrolled: 4-line block ×3, first 2 shown]
	v_sub_f16_e32 v82, v78, v0
	v_add_f16_e32 v83, v74, v81
	v_add_f16_e32 v0, v0, v78
	v_sub_f16_e32 v74, v81, v74
	v_sub_f16_e32 v73, v51, v68
	;; [unrolled: 1-line block ×7, first 2 shown]
	v_add_f16_e32 v78, v35, v55
	v_add_f16_e32 v81, v34, v33
	v_sub_f16_e32 v84, v35, v55
	v_sub_f16_e32 v86, v34, v33
	;; [unrolled: 1-line block ×4, first 2 shown]
	v_add_f16_e32 v50, v50, v61
	v_add_f16_e32 v57, v57, v63
	v_sub_f16_e32 v35, v53, v35
	v_sub_f16_e32 v34, v32, v34
	v_add_f16_e32 v53, v78, v53
	v_add_f16_e32 v32, v81, v32
	v_add_f16_e32 v61, v50, v76
	v_add_f16_sdwa v63, v57, v76 dst_sel:DWORD dst_unused:UNUSED_PAD src0_sel:DWORD src1_sel:WORD_1
	v_mul_f16_e32 v68, 0x3a52, v68
	v_mul_f16_e32 v69, 0x3a52, v69
	;; [unrolled: 1-line block ×8, first 2 shown]
	v_fma_f16 v50, v50, s10, v61
	v_fma_f16 v57, v57, s10, v63
	;; [unrolled: 1-line block ×4, first 2 shown]
	v_fma_f16 v76, v73, s11, -v76
	v_fma_f16 v78, v75, s11, -v78
	;; [unrolled: 1-line block ×4, first 2 shown]
	v_fma_f16 v73, v35, s14, v81
	v_fma_f16 v75, v34, s14, v84
	v_fma_f16 v33, v33, s2, -v84
	v_fma_f16 v35, v35, s15, -v86
	;; [unrolled: 1-line block ×4, first 2 shown]
	v_add_f16_e32 v51, v51, v50
	v_add_f16_e32 v59, v59, v57
	;; [unrolled: 1-line block ×6, first 2 shown]
	v_fma_f16 v68, v53, s12, v73
	v_fma_f16 v69, v32, s12, v75
	;; [unrolled: 1-line block ×6, first 2 shown]
	v_add_f16_e32 v34, v69, v51
	v_sub_f16_e32 v53, v59, v68
	v_add_f16_e32 v73, v32, v50
	v_sub_f16_e32 v75, v57, v35
	v_sub_f16_e32 v32, v50, v32
	v_add_f16_e32 v35, v35, v57
	v_sub_f16_e32 v50, v51, v69
	v_add_f16_e32 v51, v68, v59
	v_add_f16_e32 v57, v66, v64
	;; [unrolled: 1-line block ×3, first 2 shown]
	v_sub_f16_e32 v64, v66, v64
	v_sub_f16_e32 v46, v46, v67
	v_add_f16_e32 v66, v60, v65
	v_add_f16_e32 v67, v47, v54
	v_sub_f16_e32 v60, v60, v65
	v_sub_f16_e32 v47, v47, v54
	v_add_f16_e32 v54, v62, v58
	v_add_f16_e32 v65, v48, v49
	;; [unrolled: 4-line block ×3, first 2 shown]
	v_sub_f16_e32 v81, v76, v33
	v_add_f16_e32 v84, v55, v78
	v_add_f16_e32 v33, v33, v76
	v_sub_f16_e32 v55, v78, v55
	v_sub_f16_e32 v68, v66, v57
	;; [unrolled: 1-line block ×7, first 2 shown]
	v_add_f16_e32 v76, v58, v60
	v_add_f16_e32 v78, v48, v47
	v_sub_f16_e32 v86, v58, v60
	v_sub_f16_e32 v87, v48, v47
	;; [unrolled: 1-line block ×4, first 2 shown]
	v_add_f16_e32 v49, v54, v49
	v_add_f16_e32 v54, v65, v62
	v_sub_f16_e32 v58, v64, v58
	v_sub_f16_e32 v48, v46, v48
	v_add_f16_e32 v62, v76, v64
	v_add_f16_e32 v46, v78, v46
	;; [unrolled: 1-line block ×3, first 2 shown]
	v_add_f16_sdwa v65, v54, v85 dst_sel:DWORD dst_unused:UNUSED_PAD src0_sel:DWORD src1_sel:WORD_1
	v_mul_f16_e32 v57, 0x3a52, v57
	v_mul_f16_e32 v59, 0x3a52, v59
	v_mul_f16_e32 v76, 0x2b26, v66
	v_mul_f16_e32 v78, 0x2b26, v67
	v_mul_f16_e32 v85, 0xb846, v86
	v_mul_f16_e32 v86, 0xb846, v87
	v_mul_f16_e32 v87, 0x3b00, v60
	v_mul_f16_e32 v88, 0x3b00, v47
	v_fma_f16 v49, v49, s10, v64
	v_fma_f16 v54, v54, s10, v65
	;; [unrolled: 1-line block ×4, first 2 shown]
	v_fma_f16 v76, v68, s11, -v76
	v_fma_f16 v78, v69, s11, -v78
	;; [unrolled: 1-line block ×4, first 2 shown]
	v_fma_f16 v68, v58, s14, v85
	v_fma_f16 v69, v48, s14, v86
	v_fma_f16 v47, v47, s2, -v86
	v_fma_f16 v58, v58, s15, -v87
	;; [unrolled: 1-line block ×3, first 2 shown]
	v_add_f16_e32 v66, v66, v49
	v_add_f16_e32 v67, v67, v54
	;; [unrolled: 1-line block ×6, first 2 shown]
	v_fma_f16 v59, v46, s12, v69
	v_fma_f16 v47, v46, s12, v47
	;; [unrolled: 1-line block ×5, first 2 shown]
	v_add_f16_e32 v68, v46, v49
	v_sub_f16_e32 v69, v54, v58
	v_sub_f16_e32 v46, v49, v46
	v_add_f16_e32 v49, v58, v54
	v_mov_b32_e32 v58, 2
	v_lshlrev_b32_sdwa v27, v58, v27 dst_sel:DWORD dst_unused:UNUSED_PAD src0_sel:DWORD src1_sel:BYTE_0
	v_add3_u32 v25, 0, v25, v27
	v_pack_b32_f16 v0, v0, v74
	v_pack_b32_f16 v1, v28, v1
	;; [unrolled: 1-line block ×4, first 2 shown]
	ds_write2_b32 v25, v0, v1 offset0:96 offset1:120
	v_pack_b32_f16 v0, v29, v52
	ds_write2_b32 v25, v27, v30 offset1:24
	v_pack_b32_f16 v27, v79, v80
	v_pack_b32_f16 v30, v82, v83
	ds_write_b32 v25, v0 offset:576
	v_mul_u32_u24_e32 v0, 0x2a0, v70
	v_lshlrev_b32_sdwa v1, v58, v71 dst_sel:DWORD dst_unused:UNUSED_PAD src0_sel:DWORD src1_sel:BYTE_0
	ds_write2_b32 v25, v27, v30 offset0:48 offset1:72
	v_add3_u32 v0, 0, v0, v1
	v_pack_b32_f16 v1, v61, v63
	v_pack_b32_f16 v25, v34, v53
	ds_write2_b32 v0, v1, v25 offset1:24
	v_pack_b32_f16 v1, v73, v75
	v_pack_b32_f16 v25, v81, v84
	ds_write2_b32 v0, v1, v25 offset0:48 offset1:72
	v_pack_b32_f16 v1, v33, v55
	v_pack_b32_f16 v25, v32, v35
	v_fma_f16 v60, v60, s2, -v85
	ds_write2_b32 v0, v1, v25 offset0:96 offset1:120
	v_pack_b32_f16 v1, v50, v51
	v_fma_f16 v60, v62, s12, v60
	v_add_f16_e32 v48, v59, v66
	v_sub_f16_e32 v62, v67, v57
	ds_write_b32 v0, v1 offset:576
	v_mul_u32_u24_e32 v0, 0x2a0, v45
	v_lshlrev_b32_sdwa v1, v58, v72 dst_sel:DWORD dst_unused:UNUSED_PAD src0_sel:DWORD src1_sel:BYTE_0
	v_sub_f16_e32 v85, v76, v47
	v_add_f16_e32 v86, v60, v78
	v_add3_u32 v0, 0, v0, v1
	v_pack_b32_f16 v1, v64, v65
	v_pack_b32_f16 v25, v48, v62
	v_add_f16_e32 v47, v47, v76
	v_sub_f16_e32 v60, v78, v60
	ds_write2_b32 v0, v1, v25 offset1:24
	v_pack_b32_f16 v1, v68, v69
	v_pack_b32_f16 v25, v85, v86
	v_sub_f16_e32 v54, v66, v59
	v_add_f16_e32 v57, v57, v67
	ds_write2_b32 v0, v1, v25 offset0:48 offset1:72
	v_pack_b32_f16 v1, v47, v60
	v_pack_b32_f16 v25, v46, v49
	ds_write2_b32 v0, v1, v25 offset0:96 offset1:120
	v_pack_b32_f16 v1, v54, v57
	ds_write_b32 v0, v1 offset:576
	v_mul_u32_u24_e32 v0, 6, v4
	v_lshlrev_b32_e32 v0, 2, v0
	s_waitcnt lgkmcnt(0)
	; wave barrier
	s_waitcnt lgkmcnt(0)
	global_load_dwordx4 v[28:31], v0, s[8:9] offset:664
	global_load_dwordx2 v[50:51], v0, s[8:9] offset:680
	v_mul_i32_i24_e32 v0, 6, v8
	v_mov_b32_e32 v1, 0
	v_lshl_add_u64 v[46:47], v[0:1], 2, s[8:9]
	global_load_dwordx4 v[32:35], v[46:47], off offset:664
	global_load_dwordx2 v[52:53], v[46:47], off offset:680
	v_mul_i32_i24_e32 v0, 6, v26
	v_lshl_add_u64 v[54:55], v[0:1], 2, s[8:9]
	global_load_dwordx4 v[46:49], v[54:55], off offset:664
	ds_read2_b32 v[56:57], v21 offset0:72 offset1:128
	ds_read2_b32 v[58:59], v21 offset0:184 offset1:240
	ds_read2_b32 v[60:61], v11 offset1:224
	ds_read_b32 v0, v37
	ds_read2_b32 v[62:63], v19 offset0:104 offset1:160
	ds_read2_b32 v[64:65], v23 offset0:24 offset1:136
	ds_read_b32 v25, v44
	ds_read2_b32 v[66:67], v15 offset0:64 offset1:176
	global_load_dwordx2 v[54:55], v[54:55], off offset:680
	ds_read2_b32 v[68:69], v9 offset0:88 offset1:144
	ds_read2_b32 v[70:71], v17 offset0:40 offset1:96
	ds_read_b32 v74, v40
	ds_read_b32 v75, v42
	;; [unrolled: 1-line block ×3, first 2 shown]
	s_waitcnt lgkmcnt(12)
	v_lshrrev_b32_e32 v19, 16, v56
	s_waitcnt lgkmcnt(11)
	v_lshrrev_b32_e32 v21, 16, v59
	;; [unrolled: 2-line block ×4, first 2 shown]
	v_lshrrev_b32_e32 v27, 16, v65
	v_lshrrev_b32_e32 v17, 16, v67
	;; [unrolled: 1-line block ×11, first 2 shown]
	s_waitcnt lgkmcnt(0)
	; wave barrier
	s_waitcnt lgkmcnt(0)
	s_add_u32 s8, s8, 0x1258
	s_addc_u32 s9, s9, 0
	s_waitcnt vmcnt(5)
	v_mul_f16_sdwa v84, v28, v83 dst_sel:DWORD dst_unused:UNUSED_PAD src0_sel:WORD_1 src1_sel:DWORD
	v_fma_f16 v84, v28, v75, -v84
	v_mul_f16_sdwa v75, v28, v75 dst_sel:DWORD dst_unused:UNUSED_PAD src0_sel:WORD_1 src1_sel:DWORD
	v_fma_f16 v28, v28, v83, v75
	v_lshrrev_b32_e32 v75, 16, v74
	v_mul_f16_sdwa v83, v29, v75 dst_sel:DWORD dst_unused:UNUSED_PAD src0_sel:WORD_1 src1_sel:DWORD
	v_fma_f16 v83, v29, v74, -v83
	v_mul_f16_sdwa v74, v29, v74 dst_sel:DWORD dst_unused:UNUSED_PAD src0_sel:WORD_1 src1_sel:DWORD
	v_fma_f16 v29, v29, v75, v74
	v_lshrrev_b32_e32 v74, 16, v0
	;; [unrolled: 5-line block ×3, first 2 shown]
	v_mul_f16_sdwa v74, v31, v30 dst_sel:DWORD dst_unused:UNUSED_PAD src0_sel:WORD_1 src1_sel:DWORD
	v_fma_f16 v74, v31, v63, -v74
	v_mul_f16_sdwa v63, v31, v63 dst_sel:DWORD dst_unused:UNUSED_PAD src0_sel:WORD_1 src1_sel:DWORD
	v_fma_f16 v30, v31, v30, v63
	s_waitcnt vmcnt(4)
	v_mul_f16_sdwa v31, v19, v50 dst_sel:DWORD dst_unused:UNUSED_PAD src0_sel:DWORD src1_sel:WORD_1
	v_fma_f16 v31, v56, v50, -v31
	v_mul_f16_sdwa v56, v56, v50 dst_sel:DWORD dst_unused:UNUSED_PAD src0_sel:DWORD src1_sel:WORD_1
	v_fma_f16 v19, v19, v50, v56
	v_mul_f16_sdwa v50, v21, v51 dst_sel:DWORD dst_unused:UNUSED_PAD src0_sel:DWORD src1_sel:WORD_1
	v_mul_f16_sdwa v56, v59, v51 dst_sel:DWORD dst_unused:UNUSED_PAD src0_sel:DWORD src1_sel:WORD_1
	v_fma_f16 v50, v59, v51, -v50
	v_fma_f16 v21, v21, v51, v56
	s_waitcnt vmcnt(3)
	v_mul_f16_sdwa v51, v15, v32 dst_sel:DWORD dst_unused:UNUSED_PAD src0_sel:DWORD src1_sel:WORD_1
	v_mul_f16_sdwa v56, v61, v32 dst_sel:DWORD dst_unused:UNUSED_PAD src0_sel:DWORD src1_sel:WORD_1
	v_fma_f16 v51, v61, v32, -v51
	v_fma_f16 v15, v15, v32, v56
	v_mul_f16_sdwa v32, v27, v33 dst_sel:DWORD dst_unused:UNUSED_PAD src0_sel:DWORD src1_sel:WORD_1
	v_mul_f16_sdwa v56, v65, v33 dst_sel:DWORD dst_unused:UNUSED_PAD src0_sel:DWORD src1_sel:WORD_1
	v_fma_f16 v32, v65, v33, -v32
	v_fma_f16 v27, v27, v33, v56
	;; [unrolled: 4-line block ×4, first 2 shown]
	s_waitcnt vmcnt(2)
	v_mul_f16_sdwa v45, v72, v52 dst_sel:DWORD dst_unused:UNUSED_PAD src0_sel:DWORD src1_sel:WORD_1
	v_mul_f16_sdwa v56, v57, v52 dst_sel:DWORD dst_unused:UNUSED_PAD src0_sel:DWORD src1_sel:WORD_1
	v_fma_f16 v45, v57, v52, -v45
	v_fma_f16 v52, v72, v52, v56
	v_mul_f16_sdwa v56, v73, v53 dst_sel:DWORD dst_unused:UNUSED_PAD src0_sel:DWORD src1_sel:WORD_1
	v_mul_f16_sdwa v57, v70, v53 dst_sel:DWORD dst_unused:UNUSED_PAD src0_sel:DWORD src1_sel:WORD_1
	v_fma_f16 v56, v70, v53, -v56
	v_fma_f16 v53, v73, v53, v57
	s_waitcnt vmcnt(1)
	v_mul_f16_sdwa v57, v77, v46 dst_sel:DWORD dst_unused:UNUSED_PAD src0_sel:DWORD src1_sel:WORD_1
	v_mul_f16_sdwa v59, v64, v46 dst_sel:DWORD dst_unused:UNUSED_PAD src0_sel:DWORD src1_sel:WORD_1
	v_fma_f16 v57, v64, v46, -v57
	v_fma_f16 v46, v77, v46, v59
	v_mul_f16_sdwa v59, v78, v47 dst_sel:DWORD dst_unused:UNUSED_PAD src0_sel:DWORD src1_sel:WORD_1
	v_mul_f16_sdwa v61, v66, v47 dst_sel:DWORD dst_unused:UNUSED_PAD src0_sel:DWORD src1_sel:WORD_1
	v_fma_f16 v59, v66, v47, -v59
	v_fma_f16 v47, v78, v47, v61
	v_mul_f16_sdwa v61, v79, v48 dst_sel:DWORD dst_unused:UNUSED_PAD src0_sel:DWORD src1_sel:WORD_1
	v_fma_f16 v61, v62, v48, -v61
	v_mul_f16_sdwa v62, v62, v48 dst_sel:DWORD dst_unused:UNUSED_PAD src0_sel:DWORD src1_sel:WORD_1
	v_fma_f16 v48, v79, v48, v62
	v_mul_f16_sdwa v62, v80, v49 dst_sel:DWORD dst_unused:UNUSED_PAD src0_sel:DWORD src1_sel:WORD_1
	v_mul_f16_sdwa v63, v69, v49 dst_sel:DWORD dst_unused:UNUSED_PAD src0_sel:DWORD src1_sel:WORD_1
	v_fma_f16 v62, v69, v49, -v62
	v_fma_f16 v49, v80, v49, v63
	s_waitcnt vmcnt(0)
	v_mul_f16_sdwa v63, v81, v54 dst_sel:DWORD dst_unused:UNUSED_PAD src0_sel:DWORD src1_sel:WORD_1
	v_fma_f16 v63, v58, v54, -v63
	v_mul_f16_sdwa v58, v58, v54 dst_sel:DWORD dst_unused:UNUSED_PAD src0_sel:DWORD src1_sel:WORD_1
	v_fma_f16 v54, v81, v54, v58
	v_mul_f16_sdwa v58, v82, v55 dst_sel:DWORD dst_unused:UNUSED_PAD src0_sel:DWORD src1_sel:WORD_1
	v_mul_f16_sdwa v64, v71, v55 dst_sel:DWORD dst_unused:UNUSED_PAD src0_sel:DWORD src1_sel:WORD_1
	v_fma_f16 v58, v71, v55, -v58
	v_fma_f16 v55, v82, v55, v64
	v_add_f16_e32 v64, v84, v50
	v_add_f16_e32 v65, v28, v21
	v_sub_f16_e32 v21, v28, v21
	v_add_f16_e32 v28, v83, v31
	v_add_f16_e32 v66, v29, v19
	v_sub_f16_e32 v50, v84, v50
	v_sub_f16_e32 v31, v83, v31
	;; [unrolled: 1-line block ×3, first 2 shown]
	v_add_f16_e32 v29, v75, v74
	v_add_f16_e32 v67, v0, v30
	v_sub_f16_e32 v68, v74, v75
	v_sub_f16_e32 v0, v30, v0
	v_add_f16_e32 v30, v28, v64
	v_add_f16_e32 v69, v66, v65
	v_sub_f16_e32 v70, v28, v64
	v_sub_f16_e32 v71, v66, v65
	;; [unrolled: 1-line block ×6, first 2 shown]
	v_add_f16_e32 v72, v68, v31
	v_add_f16_e32 v73, v0, v19
	v_sub_f16_e32 v74, v68, v31
	v_sub_f16_e32 v75, v0, v19
	;; [unrolled: 1-line block ×4, first 2 shown]
	v_add_f16_e32 v29, v29, v30
	v_add_f16_e32 v30, v67, v69
	v_sub_f16_e32 v68, v50, v68
	v_sub_f16_e32 v0, v21, v0
	v_add_f16_e32 v50, v72, v50
	v_add_f16_e32 v21, v73, v21
	;; [unrolled: 1-line block ×3, first 2 shown]
	v_add_f16_sdwa v60, v60, v30 dst_sel:DWORD dst_unused:UNUSED_PAD src0_sel:WORD_1 src1_sel:DWORD
	v_mul_f16_e32 v64, 0x3a52, v64
	v_mul_f16_e32 v65, 0x3a52, v65
	;; [unrolled: 1-line block ×8, first 2 shown]
	v_fma_f16 v29, v29, s10, v67
	v_fma_f16 v30, v30, s10, v60
	;; [unrolled: 1-line block ×4, first 2 shown]
	v_fma_f16 v69, v70, s11, -v69
	v_fma_f16 v72, v71, s11, -v72
	;; [unrolled: 1-line block ×4, first 2 shown]
	v_fma_f16 v70, v68, s14, v73
	v_fma_f16 v71, v0, s14, v74
	v_fma_f16 v31, v31, s2, -v73
	v_fma_f16 v68, v68, s15, -v75
	;; [unrolled: 1-line block ×3, first 2 shown]
	v_add_f16_e32 v28, v28, v29
	v_add_f16_e32 v66, v66, v30
	;; [unrolled: 1-line block ×6, first 2 shown]
	v_fma_f16 v64, v50, s12, v70
	v_fma_f16 v31, v50, s12, v31
	v_fma_f16 v50, v50, s12, v68
	v_fma_f16 v0, v21, s12, v0
	v_fma_f16 v19, v19, s2, -v74
	v_fma_f16 v65, v21, s12, v71
	v_sub_f16_e32 v68, v66, v64
	v_add_f16_e32 v70, v0, v29
	v_sub_f16_e32 v71, v30, v50
	v_sub_f16_e32 v0, v29, v0
	v_add_f16_e32 v29, v50, v30
	v_add_f16_e32 v30, v64, v66
	;; [unrolled: 1-line block ×4, first 2 shown]
	v_sub_f16_e32 v51, v51, v56
	v_sub_f16_e32 v15, v15, v53
	v_add_f16_e32 v53, v32, v45
	v_add_f16_e32 v56, v27, v52
	v_fma_f16 v19, v21, s12, v19
	v_sub_f16_e32 v32, v32, v45
	v_sub_f16_e32 v27, v27, v52
	v_add_f16_e32 v45, v33, v34
	v_add_f16_e32 v52, v17, v35
	v_sub_f16_e32 v33, v34, v33
	v_sub_f16_e32 v17, v35, v17
	v_add_f16_e32 v34, v53, v50
	v_add_f16_e32 v35, v56, v64
	;; [unrolled: 1-line block ×3, first 2 shown]
	v_sub_f16_e32 v73, v69, v19
	v_add_f16_e32 v74, v31, v72
	v_add_f16_e32 v19, v19, v69
	v_sub_f16_e32 v31, v72, v31
	v_sub_f16_e32 v28, v28, v65
	;; [unrolled: 1-line block ×8, first 2 shown]
	v_add_f16_e32 v69, v33, v32
	v_add_f16_e32 v72, v17, v27
	v_sub_f16_e32 v75, v33, v32
	v_sub_f16_e32 v77, v17, v27
	;; [unrolled: 1-line block ×4, first 2 shown]
	v_add_f16_e32 v34, v45, v34
	v_add_f16_e32 v35, v52, v35
	v_sub_f16_e32 v33, v51, v33
	v_sub_f16_e32 v17, v15, v17
	v_add_f16_e32 v45, v69, v51
	v_add_f16_e32 v15, v72, v15
	;; [unrolled: 1-line block ×3, first 2 shown]
	v_add_f16_sdwa v25, v25, v35 dst_sel:DWORD dst_unused:UNUSED_PAD src0_sel:WORD_1 src1_sel:DWORD
	v_mul_f16_e32 v50, 0x3a52, v50
	v_mul_f16_e32 v52, 0x3a52, v64
	;; [unrolled: 1-line block ×8, first 2 shown]
	v_fma_f16 v34, v34, s10, v51
	v_fma_f16 v35, v35, s10, v25
	;; [unrolled: 1-line block ×4, first 2 shown]
	v_fma_f16 v64, v65, s11, -v64
	v_fma_f16 v69, v66, s11, -v69
	;; [unrolled: 1-line block ×4, first 2 shown]
	v_fma_f16 v65, v33, s14, v72
	v_fma_f16 v66, v17, s14, v75
	v_fma_f16 v27, v27, s2, -v75
	v_fma_f16 v33, v33, s15, -v77
	;; [unrolled: 1-line block ×4, first 2 shown]
	v_add_f16_e32 v53, v53, v34
	v_add_f16_e32 v56, v56, v35
	;; [unrolled: 1-line block ×6, first 2 shown]
	v_fma_f16 v50, v45, s12, v65
	v_fma_f16 v52, v15, s12, v66
	;; [unrolled: 1-line block ×6, first 2 shown]
	v_add_f16_e32 v17, v52, v53
	v_sub_f16_e32 v45, v56, v50
	v_add_f16_e32 v65, v15, v34
	v_sub_f16_e32 v66, v35, v33
	v_sub_f16_e32 v15, v34, v15
	v_add_f16_e32 v33, v33, v35
	v_sub_f16_e32 v34, v53, v52
	v_add_f16_e32 v35, v50, v56
	v_add_f16_e32 v50, v57, v58
	v_add_f16_e32 v52, v46, v55
	v_sub_f16_e32 v46, v46, v55
	v_add_f16_e32 v55, v59, v63
	v_add_f16_e32 v56, v47, v54
	v_sub_f16_e32 v53, v57, v58
	v_sub_f16_e32 v57, v59, v63
	;; [unrolled: 1-line block ×3, first 2 shown]
	v_add_f16_e32 v54, v61, v62
	v_add_f16_e32 v58, v48, v49
	v_sub_f16_e32 v59, v62, v61
	v_sub_f16_e32 v48, v49, v48
	v_add_f16_e32 v49, v55, v50
	v_add_f16_e32 v61, v56, v52
	v_sub_f16_e32 v72, v64, v27
	v_add_f16_e32 v75, v32, v69
	v_add_f16_e32 v27, v27, v64
	v_sub_f16_e32 v32, v69, v32
	v_sub_f16_e32 v62, v55, v50
	;; [unrolled: 1-line block ×7, first 2 shown]
	v_add_f16_e32 v64, v59, v57
	v_add_f16_e32 v69, v48, v47
	v_sub_f16_e32 v77, v59, v57
	v_sub_f16_e32 v78, v48, v47
	;; [unrolled: 1-line block ×4, first 2 shown]
	v_add_f16_e32 v49, v54, v49
	v_add_f16_e32 v54, v58, v61
	v_sub_f16_e32 v59, v53, v59
	v_sub_f16_e32 v48, v46, v48
	v_add_f16_e32 v53, v64, v53
	v_add_f16_e32 v46, v69, v46
	;; [unrolled: 1-line block ×3, first 2 shown]
	v_add_f16_sdwa v61, v76, v54 dst_sel:DWORD dst_unused:UNUSED_PAD src0_sel:WORD_1 src1_sel:DWORD
	v_mul_f16_e32 v50, 0x3a52, v50
	v_mul_f16_e32 v52, 0x3a52, v52
	;; [unrolled: 1-line block ×8, first 2 shown]
	v_fma_f16 v49, v49, s10, v58
	v_fma_f16 v54, v54, s10, v61
	;; [unrolled: 1-line block ×4, first 2 shown]
	v_fma_f16 v64, v62, s11, -v64
	v_fma_f16 v69, v63, s11, -v69
	;; [unrolled: 1-line block ×4, first 2 shown]
	v_fma_f16 v62, v59, s14, v76
	v_fma_f16 v63, v48, s14, v77
	v_fma_f16 v57, v57, s2, -v76
	v_fma_f16 v47, v47, s2, -v77
	;; [unrolled: 1-line block ×4, first 2 shown]
	v_add_f16_e32 v55, v55, v49
	v_add_f16_e32 v56, v56, v54
	;; [unrolled: 1-line block ×6, first 2 shown]
	v_fma_f16 v52, v53, s12, v62
	v_fma_f16 v54, v46, s12, v63
	;; [unrolled: 1-line block ×6, first 2 shown]
	v_pack_b32_f16 v19, v19, v31
	v_pack_b32_f16 v0, v0, v29
	v_add_f16_e32 v62, v46, v49
	v_sub_f16_e32 v63, v50, v53
	v_sub_f16_e32 v46, v49, v46
	v_add_f16_e32 v49, v53, v50
	v_pack_b32_f16 v53, v67, v60
	v_pack_b32_f16 v21, v21, v68
	ds_write2_b32 v9, v19, v0 offset0:32 offset1:200
	v_pack_b32_f16 v0, v28, v30
	ds_write2_b32 v11, v53, v21 offset1:168
	v_pack_b32_f16 v21, v70, v71
	v_pack_b32_f16 v53, v73, v74
	ds_write_b32 v11, v0 offset:4032
	v_pack_b32_f16 v0, v51, v25
	v_pack_b32_f16 v9, v17, v45
	ds_write2_b32 v23, v21, v53 offset0:80 offset1:248
	ds_write2_b32 v44, v0, v9 offset1:168
	v_pack_b32_f16 v0, v65, v66
	v_pack_b32_f16 v9, v72, v75
	v_add_u32_e32 v17, 0x400, v44
	ds_write2_b32 v17, v0, v9 offset0:80 offset1:248
	v_pack_b32_f16 v0, v27, v32
	v_pack_b32_f16 v9, v15, v33
	v_add_u32_e32 v15, 0xa00, v44
	v_add_f16_e32 v48, v54, v55
	v_sub_f16_e32 v59, v56, v52
	ds_write2_b32 v15, v0, v9 offset0:32 offset1:200
	v_pack_b32_f16 v0, v34, v35
	v_sub_f16_e32 v76, v64, v47
	v_add_f16_e32 v77, v57, v69
	ds_write_b32 v44, v0 offset:4032
	v_pack_b32_f16 v0, v58, v61
	v_pack_b32_f16 v9, v48, v59
	v_add_f16_e32 v47, v47, v64
	v_sub_f16_e32 v57, v69, v57
	ds_write2_b32 v43, v0, v9 offset1:168
	v_pack_b32_f16 v0, v62, v63
	v_pack_b32_f16 v9, v76, v77
	v_add_u32_e32 v15, 0x400, v43
	v_sub_f16_e32 v50, v55, v54
	v_add_f16_e32 v52, v52, v56
	ds_write2_b32 v15, v0, v9 offset0:80 offset1:248
	v_pack_b32_f16 v0, v47, v57
	v_pack_b32_f16 v9, v46, v49
	v_add_u32_e32 v15, 0xa00, v43
	ds_write2_b32 v15, v0, v9 offset0:32 offset1:200
	v_pack_b32_f16 v0, v50, v52
	ds_write_b32 v43, v0 offset:4032
	s_waitcnt lgkmcnt(0)
	; wave barrier
	s_waitcnt lgkmcnt(0)
	ds_read_b32 v9, v11
	v_sub_u32_e32 v0, 0, v5
	v_cmp_ne_u32_e64 s[2:3], 0, v4
                                        ; implicit-def: $vgpr17
                                        ; implicit-def: $vgpr15
                                        ; implicit-def: $vgpr5
	s_and_saveexec_b64 s[10:11], s[2:3]
	s_xor_b64 s[2:3], exec, s[10:11]
	s_cbranch_execz .LBB0_25
; %bb.24:
	v_mov_b32_e32 v5, v1
	v_lshl_add_u64 v[28:29], v[4:5], 2, s[8:9]
	global_load_dword v1, v[28:29], off
	ds_read_b32 v5, v0 offset:4704
	s_waitcnt lgkmcnt(0)
	v_add_f16_sdwa v17, v5, v9 dst_sel:DWORD dst_unused:UNUSED_PAD src0_sel:WORD_1 src1_sel:WORD_1
	v_sub_f16_e32 v19, v9, v5
	v_add_f16_e32 v15, v5, v9
	v_sub_f16_sdwa v5, v9, v5 dst_sel:DWORD dst_unused:UNUSED_PAD src0_sel:WORD_1 src1_sel:WORD_1
	v_mul_f16_e32 v9, 0.5, v17
	v_mul_f16_e32 v17, 0.5, v19
	;; [unrolled: 1-line block ×3, first 2 shown]
	s_waitcnt vmcnt(0)
	v_lshrrev_b32_e32 v19, 16, v1
	v_mul_f16_e32 v21, v19, v17
	v_fma_f16 v25, v15, 0.5, v21
	v_fma_f16 v23, v9, v19, v5
	v_fma_f16 v19, v9, v19, -v5
	v_fma_f16 v15, v15, 0.5, -v21
	v_fma_f16 v21, v1, v9, v25
	v_fma_f16 v5, -v1, v17, v23
	v_fma_f16 v15, -v1, v9, v15
	ds_write_b16 v11, v21
	v_fma_f16 v17, -v1, v17, v19
                                        ; implicit-def: $vgpr9
.LBB0_25:
	s_andn2_saveexec_b64 s[2:3], s[2:3]
	s_cbranch_execz .LBB0_27
; %bb.26:
	v_mov_b32_e32 v5, 0
	ds_read_u16 v1, v5 offset:2354
	s_waitcnt lgkmcnt(1)
	v_add_f16_sdwa v17, v9, v9 dst_sel:DWORD dst_unused:UNUSED_PAD src0_sel:WORD_1 src1_sel:DWORD
	v_sub_f16_sdwa v15, v9, v9 dst_sel:DWORD dst_unused:UNUSED_PAD src0_sel:DWORD src1_sel:WORD_1
	ds_write_b16 v11, v17
	v_mov_b32_e32 v17, 0
	s_waitcnt lgkmcnt(1)
	v_xor_b32_e32 v1, 0x8000, v1
	ds_write_b16 v5, v1 offset:2354
.LBB0_27:
	s_or_b64 exec, exec, s[2:3]
	s_waitcnt lgkmcnt(0)
	v_mov_b32_e32 v9, 0
	v_lshl_add_u64 v[28:29], v[8:9], 2, s[8:9]
	global_load_dword v1, v[28:29], off
	v_mov_b32_e32 v27, v9
	v_lshl_add_u64 v[26:27], v[26:27], 2, s[8:9]
	global_load_dword v8, v[26:27], off
	;; [unrolled: 3-line block ×3, first 2 shown]
	s_mov_b32 s2, 0x5040100
	ds_write_b16 v11, v5 offset:2
	v_perm_b32 v5, v17, v15, s2
	v_mov_b32_e32 v15, v9
	v_mov_b32_e32 v17, v9
	;; [unrolled: 1-line block ×5, first 2 shown]
	ds_write_b32 v0, v5 offset:4704
	v_lshl_add_u64 v[14:15], v[14:15], 2, s[8:9]
	v_lshl_add_u64 v[16:17], v[16:17], 2, s[8:9]
	;; [unrolled: 1-line block ×5, first 2 shown]
	ds_read_b32 v5, v44
	ds_read_b32 v11, v0 offset:4480
	global_load_dword v25, v[14:15], off
	global_load_dword v26, v[16:17], off
	;; [unrolled: 1-line block ×5, first 2 shown]
	s_mov_b32 s10, 0xffff
	s_waitcnt lgkmcnt(0)
	v_pk_add_f16 v14, v5, v11 neg_lo:[0,1] neg_hi:[0,1]
	v_pk_add_f16 v5, v5, v11
	s_nop 0
	v_bfi_b32 v11, s10, v14, v5
	v_bfi_b32 v5, s10, v5, v14
	v_pk_mul_f16 v11, v11, 0.5 op_sel_hi:[1,0]
	v_pk_mul_f16 v5, v5, 0.5 op_sel_hi:[1,0]
	s_waitcnt vmcnt(7)
	v_pk_mul_f16 v15, v1, v11 op_sel_hi:[0,1]
	v_pk_fma_f16 v14, v1, v11, v5 op_sel:[1,0,0]
	v_pk_fma_f16 v16, v1, v11, v5 op_sel:[1,0,0] neg_lo:[1,0,0] neg_hi:[1,0,0]
	v_pk_fma_f16 v1, v1, v11, v5 op_sel:[1,0,0] neg_lo:[0,0,1] neg_hi:[0,0,1]
	v_pk_add_f16 v5, v14, v15 op_sel:[0,1] op_sel_hi:[1,0]
	v_pk_add_f16 v11, v14, v15 op_sel:[0,1] op_sel_hi:[1,0] neg_lo:[0,1] neg_hi:[0,1]
	v_pk_add_f16 v14, v16, v15 op_sel:[0,1] op_sel_hi:[1,0] neg_lo:[0,1] neg_hi:[0,1]
	v_pk_add_f16 v1, v1, v15 op_sel:[0,1] op_sel_hi:[1,0] neg_lo:[0,1] neg_hi:[0,1]
	v_bfi_b32 v5, s10, v5, v11
	v_bfi_b32 v1, s10, v14, v1
	ds_write_b32 v44, v5
	ds_write_b32 v0, v1 offset:4480
	ds_read_b32 v1, v43
	ds_read_b32 v5, v0 offset:4256
	s_waitcnt lgkmcnt(0)
	v_pk_add_f16 v11, v1, v5 neg_lo:[0,1] neg_hi:[0,1]
	v_pk_add_f16 v1, v1, v5
	s_nop 0
	v_bfi_b32 v5, s10, v11, v1
	v_bfi_b32 v1, s10, v1, v11
	v_pk_mul_f16 v5, v5, 0.5 op_sel_hi:[1,0]
	v_pk_mul_f16 v1, v1, 0.5 op_sel_hi:[1,0]
	s_waitcnt vmcnt(6)
	v_pk_mul_f16 v14, v8, v5 op_sel_hi:[0,1]
	v_pk_fma_f16 v11, v8, v5, v1 op_sel:[1,0,0]
	v_pk_fma_f16 v15, v8, v5, v1 op_sel:[1,0,0] neg_lo:[1,0,0] neg_hi:[1,0,0]
	v_pk_fma_f16 v1, v8, v5, v1 op_sel:[1,0,0] neg_lo:[0,0,1] neg_hi:[0,0,1]
	v_pk_add_f16 v5, v11, v14 op_sel:[0,1] op_sel_hi:[1,0]
	v_pk_add_f16 v8, v11, v14 op_sel:[0,1] op_sel_hi:[1,0] neg_lo:[0,1] neg_hi:[0,1]
	v_pk_add_f16 v11, v15, v14 op_sel:[0,1] op_sel_hi:[1,0] neg_lo:[0,1] neg_hi:[0,1]
	v_pk_add_f16 v1, v1, v14 op_sel:[0,1] op_sel_hi:[1,0] neg_lo:[0,1] neg_hi:[0,1]
	v_bfi_b32 v5, s10, v5, v8
	v_bfi_b32 v1, s10, v11, v1
	ds_write_b32 v43, v5
	ds_write_b32 v0, v1 offset:4256
	ds_read_b32 v1, v42
	ds_read_b32 v5, v0 offset:4032
	;; [unrolled: 23-line block ×4, first 2 shown]
	s_waitcnt lgkmcnt(0)
	v_pk_add_f16 v8, v1, v5 neg_lo:[0,1] neg_hi:[0,1]
	v_pk_add_f16 v1, v1, v5
	s_nop 0
	v_bfi_b32 v5, s10, v8, v1
	v_bfi_b32 v1, s10, v1, v8
	v_pk_mul_f16 v5, v5, 0.5 op_sel_hi:[1,0]
	v_pk_mul_f16 v1, v1, 0.5 op_sel_hi:[1,0]
	s_waitcnt vmcnt(3)
	v_pk_mul_f16 v11, v26, v5 op_sel_hi:[0,1]
	v_pk_fma_f16 v8, v26, v5, v1 op_sel:[1,0,0]
	v_pk_fma_f16 v14, v26, v5, v1 op_sel:[1,0,0] neg_lo:[1,0,0] neg_hi:[1,0,0]
	v_pk_fma_f16 v1, v26, v5, v1 op_sel:[1,0,0] neg_lo:[0,0,1] neg_hi:[0,0,1]
	v_pk_add_f16 v5, v8, v11 op_sel:[0,1] op_sel_hi:[1,0]
	v_pk_add_f16 v8, v8, v11 op_sel:[0,1] op_sel_hi:[1,0] neg_lo:[0,1] neg_hi:[0,1]
	v_pk_add_f16 v14, v14, v11 op_sel:[0,1] op_sel_hi:[1,0] neg_lo:[0,1] neg_hi:[0,1]
	;; [unrolled: 1-line block ×3, first 2 shown]
	v_bfi_b32 v5, s10, v5, v8
	v_bfi_b32 v1, s10, v14, v1
	ds_write_b32 v13, v5
	ds_write_b32 v0, v1 offset:3584
	v_mov_b32_e32 v13, v9
	v_lshl_add_u64 v[12:13], v[12:13], 2, s[8:9]
	ds_read_b32 v1, v40
	ds_read_b32 v5, v0 offset:3360
	global_load_dword v8, v[12:13], off
	s_waitcnt lgkmcnt(0)
	v_pk_add_f16 v11, v1, v5 neg_lo:[0,1] neg_hi:[0,1]
	v_pk_add_f16 v1, v1, v5
	s_nop 0
	v_bfi_b32 v5, s10, v11, v1
	v_bfi_b32 v1, s10, v1, v11
	v_pk_mul_f16 v5, v5, 0.5 op_sel_hi:[1,0]
	v_pk_mul_f16 v1, v1, 0.5 op_sel_hi:[1,0]
	s_waitcnt vmcnt(3)
	v_pk_mul_f16 v12, v27, v5 op_sel_hi:[0,1]
	v_pk_fma_f16 v11, v27, v5, v1 op_sel:[1,0,0]
	s_nop 0
	v_pk_add_f16 v13, v11, v12 op_sel:[0,1] op_sel_hi:[1,0]
	v_pk_add_f16 v11, v11, v12 op_sel:[0,1] op_sel_hi:[1,0] neg_lo:[0,1] neg_hi:[0,1]
	s_nop 0
	v_bfi_b32 v11, s10, v13, v11
	ds_write_b32 v40, v11
	v_pk_fma_f16 v11, v27, v5, v1 op_sel:[1,0,0] neg_lo:[1,0,0] neg_hi:[1,0,0]
	v_pk_fma_f16 v1, v27, v5, v1 op_sel:[1,0,0] neg_lo:[0,0,1] neg_hi:[0,0,1]
	v_pk_add_f16 v11, v11, v12 op_sel:[0,1] op_sel_hi:[1,0] neg_lo:[0,1] neg_hi:[0,1]
	v_pk_add_f16 v1, v1, v12 op_sel:[0,1] op_sel_hi:[1,0] neg_lo:[0,1] neg_hi:[0,1]
	s_nop 0
	v_bfi_b32 v1, s10, v11, v1
	ds_write_b32 v0, v1 offset:3360
	ds_read_b32 v1, v39
	ds_read_b32 v5, v0 offset:3136
	s_waitcnt lgkmcnt(0)
	v_pk_add_f16 v11, v1, v5 neg_lo:[0,1] neg_hi:[0,1]
	v_pk_add_f16 v1, v1, v5
	s_nop 0
	v_bfi_b32 v5, s10, v11, v1
	v_bfi_b32 v1, s10, v1, v11
	v_pk_mul_f16 v5, v5, 0.5 op_sel_hi:[1,0]
	v_pk_mul_f16 v1, v1, 0.5 op_sel_hi:[1,0]
	s_waitcnt vmcnt(2)
	v_pk_mul_f16 v12, v28, v5 op_sel_hi:[0,1]
	v_pk_fma_f16 v11, v28, v5, v1 op_sel:[1,0,0]
	s_nop 0
	v_pk_add_f16 v13, v11, v12 op_sel:[0,1] op_sel_hi:[1,0]
	v_pk_add_f16 v11, v11, v12 op_sel:[0,1] op_sel_hi:[1,0] neg_lo:[0,1] neg_hi:[0,1]
	s_nop 0
	v_bfi_b32 v11, s10, v13, v11
	ds_write_b32 v39, v11
	v_pk_fma_f16 v11, v28, v5, v1 op_sel:[1,0,0] neg_lo:[1,0,0] neg_hi:[1,0,0]
	v_pk_fma_f16 v1, v28, v5, v1 op_sel:[1,0,0] neg_lo:[0,0,1] neg_hi:[0,0,1]
	v_pk_add_f16 v11, v11, v12 op_sel:[0,1] op_sel_hi:[1,0] neg_lo:[0,1] neg_hi:[0,1]
	v_pk_add_f16 v1, v1, v12 op_sel:[0,1] op_sel_hi:[1,0] neg_lo:[0,1] neg_hi:[0,1]
	s_nop 0
	v_bfi_b32 v1, s10, v11, v1
	ds_write_b32 v0, v1 offset:3136
	ds_read_b32 v1, v38
	ds_read_b32 v5, v0 offset:2912
	;; [unrolled: 26-line block ×3, first 2 shown]
	s_waitcnt lgkmcnt(0)
	v_pk_add_f16 v11, v1, v5 neg_lo:[0,1] neg_hi:[0,1]
	v_pk_add_f16 v1, v1, v5
	s_nop 0
	v_bfi_b32 v5, s10, v11, v1
	v_bfi_b32 v1, s10, v1, v11
	v_pk_mul_f16 v5, v5, 0.5 op_sel_hi:[1,0]
	v_pk_mul_f16 v1, v1, 0.5 op_sel_hi:[1,0]
	s_waitcnt vmcnt(0)
	v_pk_mul_f16 v12, v8, v5 op_sel_hi:[0,1]
	v_pk_fma_f16 v11, v8, v5, v1 op_sel:[1,0,0]
	s_nop 0
	v_pk_add_f16 v13, v11, v12 op_sel:[0,1] op_sel_hi:[1,0]
	v_pk_add_f16 v11, v11, v12 op_sel:[0,1] op_sel_hi:[1,0] neg_lo:[0,1] neg_hi:[0,1]
	s_nop 0
	v_bfi_b32 v11, s10, v13, v11
	ds_write_b32 v37, v11
	v_pk_fma_f16 v11, v8, v5, v1 op_sel:[1,0,0] neg_lo:[1,0,0] neg_hi:[1,0,0]
	v_pk_fma_f16 v1, v8, v5, v1 op_sel:[1,0,0] neg_lo:[0,0,1] neg_hi:[0,0,1]
	v_pk_add_f16 v11, v11, v12 op_sel:[0,1] op_sel_hi:[1,0] neg_lo:[0,1] neg_hi:[0,1]
	v_pk_add_f16 v1, v1, v12 op_sel:[0,1] op_sel_hi:[1,0] neg_lo:[0,1] neg_hi:[0,1]
	s_nop 0
	v_bfi_b32 v1, s10, v11, v1
	ds_write_b32 v0, v1 offset:2688
	s_and_saveexec_b64 s[2:3], vcc
	s_cbranch_execz .LBB0_29
; %bb.28:
	v_mov_b32_e32 v11, v9
	v_lshl_add_u64 v[8:9], v[10:11], 2, s[8:9]
	global_load_dword v1, v[8:9], off
	ds_read_b32 v5, v36
	ds_read_b32 v8, v0 offset:2464
	s_waitcnt lgkmcnt(0)
	v_pk_add_f16 v9, v5, v8 neg_lo:[0,1] neg_hi:[0,1]
	v_pk_add_f16 v5, v5, v8
	s_nop 0
	v_bfi_b32 v8, s10, v9, v5
	v_bfi_b32 v5, s10, v5, v9
	v_pk_mul_f16 v8, v8, 0.5 op_sel_hi:[1,0]
	v_pk_mul_f16 v5, v5, 0.5 op_sel_hi:[1,0]
	s_waitcnt vmcnt(0)
	v_pk_mul_f16 v10, v1, v8 op_sel_hi:[0,1]
	v_pk_fma_f16 v9, v1, v8, v5 op_sel:[1,0,0]
	v_pk_fma_f16 v11, v1, v8, v5 op_sel:[1,0,0] neg_lo:[1,0,0] neg_hi:[1,0,0]
	v_pk_fma_f16 v1, v1, v8, v5 op_sel:[1,0,0] neg_lo:[0,0,1] neg_hi:[0,0,1]
	v_pk_add_f16 v5, v9, v10 op_sel:[0,1] op_sel_hi:[1,0]
	v_pk_add_f16 v8, v9, v10 op_sel:[0,1] op_sel_hi:[1,0] neg_lo:[0,1] neg_hi:[0,1]
	v_pk_add_f16 v9, v11, v10 op_sel:[0,1] op_sel_hi:[1,0] neg_lo:[0,1] neg_hi:[0,1]
	;; [unrolled: 1-line block ×3, first 2 shown]
	v_bfi_b32 v5, s10, v5, v8
	v_bfi_b32 v1, s10, v9, v1
	ds_write_b32 v36, v5
	ds_write_b32 v0, v1 offset:2464
.LBB0_29:
	s_or_b64 exec, exec, s[2:3]
	s_waitcnt lgkmcnt(0)
	; wave barrier
	s_waitcnt lgkmcnt(0)
	s_and_saveexec_b64 s[2:3], s[0:1]
	s_cbranch_execz .LBB0_32
; %bb.30:
	v_mul_lo_u32 v5, s5, v6
	v_mul_lo_u32 v7, s4, v7
	v_mad_u64_u32 v[0:1], s[0:1], s4, v6, 0
	v_lshl_add_u32 v10, v4, 2, 0
	v_add3_u32 v1, v1, v7, v5
	ds_read2_b32 v[6:7], v10 offset1:56
	v_lshl_add_u64 v[0:1], v[0:1], 2, s[6:7]
	v_mov_b32_e32 v5, 0
	v_lshl_add_u64 v[0:1], v[2:3], 2, v[0:1]
	v_lshl_add_u64 v[2:3], v[4:5], 2, v[0:1]
	ds_read2_b32 v[8:9], v10 offset0:112 offset1:168
	s_waitcnt lgkmcnt(1)
	global_store_dword v[2:3], v6, off
	v_add_u32_e32 v2, 56, v4
	v_mov_b32_e32 v3, v5
	v_lshl_add_u64 v[2:3], v[2:3], 2, v[0:1]
	global_store_dword v[2:3], v7, off
	v_add_u32_e32 v2, 0x70, v4
	v_mov_b32_e32 v3, v5
	v_add_u32_e32 v6, 0x200, v10
	v_lshl_add_u64 v[2:3], v[2:3], 2, v[0:1]
	ds_read2_b32 v[6:7], v6 offset0:96 offset1:152
	s_waitcnt lgkmcnt(1)
	global_store_dword v[2:3], v8, off
	v_add_u32_e32 v2, 0xa8, v4
	v_mov_b32_e32 v3, v5
	v_lshl_add_u64 v[2:3], v[2:3], 2, v[0:1]
	global_store_dword v[2:3], v9, off
	v_add_u32_e32 v2, 0xe0, v4
	v_mov_b32_e32 v3, v5
	v_lshl_add_u64 v[2:3], v[2:3], 2, v[0:1]
	s_waitcnt lgkmcnt(0)
	global_store_dword v[2:3], v6, off
	v_add_u32_e32 v6, 0x400, v10
	ds_read2_b32 v[8:9], v6 offset0:80 offset1:136
	v_add_u32_e32 v2, 0x118, v4
	v_mov_b32_e32 v3, v5
	v_lshl_add_u64 v[2:3], v[2:3], 2, v[0:1]
	global_store_dword v[2:3], v7, off
	v_add_u32_e32 v2, 0x150, v4
	v_mov_b32_e32 v3, v5
	v_lshl_add_u64 v[2:3], v[2:3], 2, v[0:1]
	ds_read2_b32 v[6:7], v6 offset0:192 offset1:248
	s_waitcnt lgkmcnt(1)
	global_store_dword v[2:3], v8, off
	v_add_u32_e32 v2, 0x188, v4
	v_mov_b32_e32 v3, v5
	v_lshl_add_u64 v[2:3], v[2:3], 2, v[0:1]
	global_store_dword v[2:3], v9, off
	v_add_u32_e32 v2, 0x1c0, v4
	v_mov_b32_e32 v3, v5
	v_lshl_add_u64 v[2:3], v[2:3], 2, v[0:1]
	s_waitcnt lgkmcnt(0)
	global_store_dword v[2:3], v6, off
	v_add_u32_e32 v6, 0x800, v10
	ds_read2_b32 v[8:9], v6 offset0:48 offset1:104
	v_add_u32_e32 v2, 0x1f8, v4
	v_mov_b32_e32 v3, v5
	v_lshl_add_u64 v[2:3], v[2:3], 2, v[0:1]
	global_store_dword v[2:3], v7, off
	v_add_u32_e32 v2, 0x230, v4
	v_mov_b32_e32 v3, v5
	;; [unrolled: 21-line block ×4, first 2 shown]
	v_lshl_add_u64 v[2:3], v[2:3], 2, v[0:1]
	ds_read_b32 v6, v10 offset:4480
	s_waitcnt lgkmcnt(1)
	global_store_dword v[2:3], v8, off
	v_add_u32_e32 v2, 0x428, v4
	v_mov_b32_e32 v3, v5
	v_lshl_add_u64 v[2:3], v[2:3], 2, v[0:1]
	global_store_dword v[2:3], v9, off
	v_add_u32_e32 v2, 0x460, v4
	v_mov_b32_e32 v3, v5
	v_lshl_add_u64 v[2:3], v[2:3], 2, v[0:1]
	v_cmp_eq_u32_e32 vcc, 55, v4
	s_waitcnt lgkmcnt(0)
	global_store_dword v[2:3], v6, off
	s_and_b64 exec, exec, vcc
	s_cbranch_execz .LBB0_32
; %bb.31:
	ds_read_b32 v2, v5 offset:4704
	v_add_co_u32_e32 v0, vcc, 0x1000, v0
	s_nop 1
	v_addc_co_u32_e32 v1, vcc, 0, v1, vcc
	s_waitcnt lgkmcnt(0)
	global_store_dword v[0:1], v2, off offset:608
.LBB0_32:
	s_endpgm
	.section	.rodata,"a",@progbits
	.p2align	6, 0x0
	.amdhsa_kernel fft_rtc_fwd_len1176_factors_2_2_2_3_7_7_wgs_56_tpt_56_halfLds_half_op_CI_CI_unitstride_sbrr_R2C_dirReg
		.amdhsa_group_segment_fixed_size 0
		.amdhsa_private_segment_fixed_size 0
		.amdhsa_kernarg_size 104
		.amdhsa_user_sgpr_count 2
		.amdhsa_user_sgpr_dispatch_ptr 0
		.amdhsa_user_sgpr_queue_ptr 0
		.amdhsa_user_sgpr_kernarg_segment_ptr 1
		.amdhsa_user_sgpr_dispatch_id 0
		.amdhsa_user_sgpr_kernarg_preload_length 0
		.amdhsa_user_sgpr_kernarg_preload_offset 0
		.amdhsa_user_sgpr_private_segment_size 0
		.amdhsa_uses_dynamic_stack 0
		.amdhsa_enable_private_segment 0
		.amdhsa_system_sgpr_workgroup_id_x 1
		.amdhsa_system_sgpr_workgroup_id_y 0
		.amdhsa_system_sgpr_workgroup_id_z 0
		.amdhsa_system_sgpr_workgroup_info 0
		.amdhsa_system_vgpr_workitem_id 0
		.amdhsa_next_free_vgpr 95
		.amdhsa_next_free_sgpr 28
		.amdhsa_accum_offset 96
		.amdhsa_reserve_vcc 1
		.amdhsa_float_round_mode_32 0
		.amdhsa_float_round_mode_16_64 0
		.amdhsa_float_denorm_mode_32 3
		.amdhsa_float_denorm_mode_16_64 3
		.amdhsa_dx10_clamp 1
		.amdhsa_ieee_mode 1
		.amdhsa_fp16_overflow 0
		.amdhsa_tg_split 0
		.amdhsa_exception_fp_ieee_invalid_op 0
		.amdhsa_exception_fp_denorm_src 0
		.amdhsa_exception_fp_ieee_div_zero 0
		.amdhsa_exception_fp_ieee_overflow 0
		.amdhsa_exception_fp_ieee_underflow 0
		.amdhsa_exception_fp_ieee_inexact 0
		.amdhsa_exception_int_div_zero 0
	.end_amdhsa_kernel
	.text
.Lfunc_end0:
	.size	fft_rtc_fwd_len1176_factors_2_2_2_3_7_7_wgs_56_tpt_56_halfLds_half_op_CI_CI_unitstride_sbrr_R2C_dirReg, .Lfunc_end0-fft_rtc_fwd_len1176_factors_2_2_2_3_7_7_wgs_56_tpt_56_halfLds_half_op_CI_CI_unitstride_sbrr_R2C_dirReg
                                        ; -- End function
	.section	.AMDGPU.csdata,"",@progbits
; Kernel info:
; codeLenInByte = 14868
; NumSgprs: 34
; NumVgprs: 95
; NumAgprs: 0
; TotalNumVgprs: 95
; ScratchSize: 0
; MemoryBound: 0
; FloatMode: 240
; IeeeMode: 1
; LDSByteSize: 0 bytes/workgroup (compile time only)
; SGPRBlocks: 4
; VGPRBlocks: 11
; NumSGPRsForWavesPerEU: 34
; NumVGPRsForWavesPerEU: 95
; AccumOffset: 96
; Occupancy: 5
; WaveLimiterHint : 1
; COMPUTE_PGM_RSRC2:SCRATCH_EN: 0
; COMPUTE_PGM_RSRC2:USER_SGPR: 2
; COMPUTE_PGM_RSRC2:TRAP_HANDLER: 0
; COMPUTE_PGM_RSRC2:TGID_X_EN: 1
; COMPUTE_PGM_RSRC2:TGID_Y_EN: 0
; COMPUTE_PGM_RSRC2:TGID_Z_EN: 0
; COMPUTE_PGM_RSRC2:TIDIG_COMP_CNT: 0
; COMPUTE_PGM_RSRC3_GFX90A:ACCUM_OFFSET: 23
; COMPUTE_PGM_RSRC3_GFX90A:TG_SPLIT: 0
	.text
	.p2alignl 6, 3212836864
	.fill 256, 4, 3212836864
	.type	__hip_cuid_ba0fa0fddb56980,@object ; @__hip_cuid_ba0fa0fddb56980
	.section	.bss,"aw",@nobits
	.globl	__hip_cuid_ba0fa0fddb56980
__hip_cuid_ba0fa0fddb56980:
	.byte	0                               ; 0x0
	.size	__hip_cuid_ba0fa0fddb56980, 1

	.ident	"AMD clang version 19.0.0git (https://github.com/RadeonOpenCompute/llvm-project roc-6.4.0 25133 c7fe45cf4b819c5991fe208aaa96edf142730f1d)"
	.section	".note.GNU-stack","",@progbits
	.addrsig
	.addrsig_sym __hip_cuid_ba0fa0fddb56980
	.amdgpu_metadata
---
amdhsa.kernels:
  - .agpr_count:     0
    .args:
      - .actual_access:  read_only
        .address_space:  global
        .offset:         0
        .size:           8
        .value_kind:     global_buffer
      - .offset:         8
        .size:           8
        .value_kind:     by_value
      - .actual_access:  read_only
        .address_space:  global
        .offset:         16
        .size:           8
        .value_kind:     global_buffer
      - .actual_access:  read_only
        .address_space:  global
        .offset:         24
        .size:           8
        .value_kind:     global_buffer
      - .actual_access:  read_only
        .address_space:  global
        .offset:         32
        .size:           8
        .value_kind:     global_buffer
      - .offset:         40
        .size:           8
        .value_kind:     by_value
      - .actual_access:  read_only
        .address_space:  global
        .offset:         48
        .size:           8
        .value_kind:     global_buffer
      - .actual_access:  read_only
        .address_space:  global
        .offset:         56
        .size:           8
        .value_kind:     global_buffer
      - .offset:         64
        .size:           4
        .value_kind:     by_value
      - .actual_access:  read_only
        .address_space:  global
        .offset:         72
        .size:           8
        .value_kind:     global_buffer
      - .actual_access:  read_only
        .address_space:  global
        .offset:         80
        .size:           8
        .value_kind:     global_buffer
      - .actual_access:  read_only
        .address_space:  global
        .offset:         88
        .size:           8
        .value_kind:     global_buffer
      - .actual_access:  write_only
        .address_space:  global
        .offset:         96
        .size:           8
        .value_kind:     global_buffer
    .group_segment_fixed_size: 0
    .kernarg_segment_align: 8
    .kernarg_segment_size: 104
    .language:       OpenCL C
    .language_version:
      - 2
      - 0
    .max_flat_workgroup_size: 56
    .name:           fft_rtc_fwd_len1176_factors_2_2_2_3_7_7_wgs_56_tpt_56_halfLds_half_op_CI_CI_unitstride_sbrr_R2C_dirReg
    .private_segment_fixed_size: 0
    .sgpr_count:     34
    .sgpr_spill_count: 0
    .symbol:         fft_rtc_fwd_len1176_factors_2_2_2_3_7_7_wgs_56_tpt_56_halfLds_half_op_CI_CI_unitstride_sbrr_R2C_dirReg.kd
    .uniform_work_group_size: 1
    .uses_dynamic_stack: false
    .vgpr_count:     95
    .vgpr_spill_count: 0
    .wavefront_size: 64
amdhsa.target:   amdgcn-amd-amdhsa--gfx950
amdhsa.version:
  - 1
  - 2
...

	.end_amdgpu_metadata
